;; amdgpu-corpus repo=ROCm/AMDMIGraphX kind=compiled arch=gfx1030 opt=O3
	.text
	.amdgcn_target "amdgcn-amd-amdhsa--gfx1030"
	.amdhsa_code_object_version 6
	.p2align	2                               ; -- Begin function _ZNK8migraphx13basic_printerIZNS_4coutEvEUlT_E_ElsEPKc
	.type	_ZNK8migraphx13basic_printerIZNS_4coutEvEUlT_E_ElsEPKc,@function
_ZNK8migraphx13basic_printerIZNS_4coutEvEUlT_E_ElsEPKc: ; @_ZNK8migraphx13basic_printerIZNS_4coutEvEUlT_E_ElsEPKc
; %bb.0:
	s_waitcnt vmcnt(0) expcnt(0) lgkmcnt(0)
	s_load_dwordx2 s[6:7], s[8:9], 0x50
	v_mbcnt_lo_u32_b32 v33, -1, 0
	v_mov_b32_e32 v8, 0
	v_mov_b32_e32 v9, 0
	v_readfirstlane_b32 s4, v33
	v_cmp_eq_u32_e64 s4, s4, v33
	s_and_saveexec_b32 s5, s4
	s_cbranch_execz .LBB0_6
; %bb.1:
	v_mov_b32_e32 v2, 0
	s_mov_b32 s8, exec_lo
	s_waitcnt lgkmcnt(0)
	global_load_dwordx2 v[5:6], v2, s[6:7] offset:24 glc dlc
	s_waitcnt vmcnt(0)
	buffer_gl1_inv
	buffer_gl0_inv
	s_clause 0x1
	global_load_dwordx2 v[3:4], v2, s[6:7] offset:40
	global_load_dwordx2 v[7:8], v2, s[6:7]
	s_waitcnt vmcnt(1)
	v_and_b32_e32 v4, v4, v6
	v_and_b32_e32 v3, v3, v5
	v_mul_lo_u32 v4, v4, 24
	v_mul_hi_u32 v9, v3, 24
	v_mul_lo_u32 v3, v3, 24
	v_add_nc_u32_e32 v4, v9, v4
	s_waitcnt vmcnt(0)
	v_add_co_u32 v3, vcc_lo, v7, v3
	v_add_co_ci_u32_e32 v4, vcc_lo, v8, v4, vcc_lo
	global_load_dwordx2 v[3:4], v[3:4], off glc dlc
	s_waitcnt vmcnt(0)
	global_atomic_cmpswap_x2 v[8:9], v2, v[3:6], s[6:7] offset:24 glc
	s_waitcnt vmcnt(0)
	buffer_gl1_inv
	buffer_gl0_inv
	v_cmpx_ne_u64_e64 v[8:9], v[5:6]
	s_cbranch_execz .LBB0_5
; %bb.2:
	s_mov_b32 s9, 0
	.p2align	6
.LBB0_3:                                ; =>This Inner Loop Header: Depth=1
	s_sleep 1
	s_clause 0x1
	global_load_dwordx2 v[3:4], v2, s[6:7] offset:40
	global_load_dwordx2 v[10:11], v2, s[6:7]
	v_mov_b32_e32 v5, v8
	v_mov_b32_e32 v6, v9
	s_waitcnt vmcnt(1)
	v_and_b32_e32 v3, v3, v5
	v_and_b32_e32 v4, v4, v6
	s_waitcnt vmcnt(0)
	v_mad_u64_u32 v[7:8], null, v3, 24, v[10:11]
	v_mov_b32_e32 v3, v8
	v_mad_u64_u32 v[3:4], null, v4, 24, v[3:4]
	v_mov_b32_e32 v8, v3
	global_load_dwordx2 v[3:4], v[7:8], off glc dlc
	s_waitcnt vmcnt(0)
	global_atomic_cmpswap_x2 v[8:9], v2, v[3:6], s[6:7] offset:24 glc
	s_waitcnt vmcnt(0)
	buffer_gl1_inv
	buffer_gl0_inv
	v_cmp_eq_u64_e32 vcc_lo, v[8:9], v[5:6]
	s_or_b32 s9, vcc_lo, s9
	s_andn2_b32 exec_lo, exec_lo, s9
	s_cbranch_execnz .LBB0_3
; %bb.4:
	s_or_b32 exec_lo, exec_lo, s9
.LBB0_5:
	s_or_b32 exec_lo, exec_lo, s8
.LBB0_6:
	s_or_b32 exec_lo, exec_lo, s5
	v_mov_b32_e32 v7, 0
	v_readfirstlane_b32 s8, v8
	v_readfirstlane_b32 s9, v9
	s_mov_b32 s5, exec_lo
	s_waitcnt lgkmcnt(0)
	s_clause 0x1
	global_load_dwordx2 v[10:11], v7, s[6:7] offset:40
	global_load_dwordx4 v[2:5], v7, s[6:7]
	s_waitcnt vmcnt(1)
	v_readfirstlane_b32 s10, v10
	v_readfirstlane_b32 s11, v11
	s_and_b64 s[10:11], s[8:9], s[10:11]
	s_mul_i32 s12, s11, 24
	s_mul_hi_u32 s13, s10, 24
	s_mul_i32 s14, s10, 24
	s_add_i32 s13, s13, s12
	s_waitcnt vmcnt(0)
	v_add_co_u32 v10, vcc_lo, v2, s14
	v_add_co_ci_u32_e32 v11, vcc_lo, s13, v3, vcc_lo
	s_and_saveexec_b32 s12, s4
	s_cbranch_execz .LBB0_8
; %bb.7:
	v_mov_b32_e32 v6, s5
	v_mov_b32_e32 v8, 2
	;; [unrolled: 1-line block ×3, first 2 shown]
	global_store_dwordx4 v[10:11], v[6:9], off offset:8
.LBB0_8:
	s_or_b32 exec_lo, exec_lo, s12
	s_lshl_b64 s[10:11], s[10:11], 12
	v_lshlrev_b32_e32 v32, 6, v33
	v_add_co_u32 v4, vcc_lo, v4, s10
	v_add_co_ci_u32_e32 v5, vcc_lo, s11, v5, vcc_lo
	s_mov_b32 s12, 0
	v_add_co_u32 v12, vcc_lo, v4, v32
	s_mov_b32 s15, s12
	s_mov_b32 s13, s12
	;; [unrolled: 1-line block ×3, first 2 shown]
	v_mov_b32_e32 v6, 33
	v_mov_b32_e32 v8, v7
	;; [unrolled: 1-line block ×3, first 2 shown]
	v_readfirstlane_b32 s10, v4
	v_readfirstlane_b32 s11, v5
	v_mov_b32_e32 v17, s15
	v_add_co_ci_u32_e32 v13, vcc_lo, 0, v5, vcc_lo
	v_mov_b32_e32 v16, s14
	v_mov_b32_e32 v15, s13
	;; [unrolled: 1-line block ×3, first 2 shown]
	global_store_dwordx4 v32, v[6:9], s[10:11]
	global_store_dwordx4 v32, v[14:17], s[10:11] offset:16
	global_store_dwordx4 v32, v[14:17], s[10:11] offset:32
	;; [unrolled: 1-line block ×3, first 2 shown]
	s_and_saveexec_b32 s5, s4
	s_cbranch_execz .LBB0_16
; %bb.9:
	v_mov_b32_e32 v8, 0
	v_mov_b32_e32 v14, s8
	;; [unrolled: 1-line block ×3, first 2 shown]
	s_mov_b32 s10, exec_lo
	s_clause 0x1
	global_load_dwordx2 v[16:17], v8, s[6:7] offset:32 glc dlc
	global_load_dwordx2 v[4:5], v8, s[6:7] offset:40
	s_waitcnt vmcnt(0)
	v_and_b32_e32 v5, s9, v5
	v_and_b32_e32 v4, s8, v4
	v_mul_lo_u32 v5, v5, 24
	v_mul_hi_u32 v6, v4, 24
	v_mul_lo_u32 v4, v4, 24
	v_add_nc_u32_e32 v5, v6, v5
	v_add_co_u32 v6, vcc_lo, v2, v4
	v_add_co_ci_u32_e32 v7, vcc_lo, v3, v5, vcc_lo
	global_store_dwordx2 v[6:7], v[16:17], off
	s_waitcnt_vscnt null, 0x0
	global_atomic_cmpswap_x2 v[4:5], v8, v[14:17], s[6:7] offset:32 glc
	s_waitcnt vmcnt(0)
	v_cmpx_ne_u64_e64 v[4:5], v[16:17]
	s_cbranch_execz .LBB0_12
; %bb.10:
	s_mov_b32 s11, 0
.LBB0_11:                               ; =>This Inner Loop Header: Depth=1
	v_mov_b32_e32 v2, s8
	v_mov_b32_e32 v3, s9
	s_sleep 1
	global_store_dwordx2 v[6:7], v[4:5], off
	s_waitcnt_vscnt null, 0x0
	global_atomic_cmpswap_x2 v[2:3], v8, v[2:5], s[6:7] offset:32 glc
	s_waitcnt vmcnt(0)
	v_cmp_eq_u64_e32 vcc_lo, v[2:3], v[4:5]
	v_mov_b32_e32 v5, v3
	v_mov_b32_e32 v4, v2
	s_or_b32 s11, vcc_lo, s11
	s_andn2_b32 exec_lo, exec_lo, s11
	s_cbranch_execnz .LBB0_11
.LBB0_12:
	s_or_b32 exec_lo, exec_lo, s10
	v_mov_b32_e32 v5, 0
	s_mov_b32 s11, exec_lo
	s_mov_b32 s10, exec_lo
	v_mbcnt_lo_u32_b32 v4, s11, 0
	global_load_dwordx2 v[2:3], v5, s[6:7] offset:16
	v_cmpx_eq_u32_e32 0, v4
	s_cbranch_execz .LBB0_14
; %bb.13:
	s_bcnt1_i32_b32 s11, s11
	v_mov_b32_e32 v4, s11
	s_waitcnt vmcnt(0)
	global_atomic_add_x2 v[2:3], v[4:5], off offset:8
.LBB0_14:
	s_or_b32 exec_lo, exec_lo, s10
	s_waitcnt vmcnt(0)
	global_load_dwordx2 v[4:5], v[2:3], off offset:16
	s_waitcnt vmcnt(0)
	v_cmp_eq_u64_e32 vcc_lo, 0, v[4:5]
	s_cbranch_vccnz .LBB0_16
; %bb.15:
	global_load_dword v2, v[2:3], off offset:24
	v_mov_b32_e32 v3, 0
	s_waitcnt vmcnt(0)
	v_and_b32_e32 v6, 0x7fffff, v2
	s_waitcnt_vscnt null, 0x0
	global_store_dwordx2 v[4:5], v[2:3], off
	v_readfirstlane_b32 m0, v6
	s_sendmsg sendmsg(MSG_INTERRUPT)
.LBB0_16:
	s_or_b32 exec_lo, exec_lo, s5
	s_branch .LBB0_20
	.p2align	6
.LBB0_17:                               ;   in Loop: Header=BB0_20 Depth=1
	s_or_b32 exec_lo, exec_lo, s5
	v_readfirstlane_b32 s5, v2
	s_cmp_eq_u32 s5, 0
	s_cbranch_scc1 .LBB0_19
; %bb.18:                               ;   in Loop: Header=BB0_20 Depth=1
	s_sleep 1
	s_cbranch_execnz .LBB0_20
	s_branch .LBB0_22
	.p2align	6
.LBB0_19:
	s_branch .LBB0_22
.LBB0_20:                               ; =>This Inner Loop Header: Depth=1
	v_mov_b32_e32 v2, 1
	s_and_saveexec_b32 s5, s4
	s_cbranch_execz .LBB0_17
; %bb.21:                               ;   in Loop: Header=BB0_20 Depth=1
	global_load_dword v2, v[10:11], off offset:20 glc dlc
	s_waitcnt vmcnt(0)
	buffer_gl1_inv
	buffer_gl0_inv
	v_and_b32_e32 v2, 1, v2
	s_branch .LBB0_17
.LBB0_22:
	global_load_dwordx2 v[6:7], v[12:13], off
	s_and_saveexec_b32 s5, s4
	s_cbranch_execz .LBB0_26
; %bb.23:
	v_mov_b32_e32 v10, 0
	s_clause 0x2
	global_load_dwordx2 v[4:5], v10, s[6:7] offset:40
	global_load_dwordx2 v[11:12], v10, s[6:7] offset:24 glc dlc
	global_load_dwordx2 v[8:9], v10, s[6:7]
	s_waitcnt vmcnt(2)
	v_add_co_u32 v13, vcc_lo, v4, 1
	v_add_co_ci_u32_e32 v14, vcc_lo, 0, v5, vcc_lo
	v_add_co_u32 v2, vcc_lo, v13, s8
	v_add_co_ci_u32_e32 v3, vcc_lo, s9, v14, vcc_lo
	v_cmp_eq_u64_e32 vcc_lo, 0, v[2:3]
	v_cndmask_b32_e32 v3, v3, v14, vcc_lo
	v_cndmask_b32_e32 v2, v2, v13, vcc_lo
	v_and_b32_e32 v5, v3, v5
	v_and_b32_e32 v4, v2, v4
	v_mul_lo_u32 v5, v5, 24
	v_mul_hi_u32 v13, v4, 24
	v_mul_lo_u32 v4, v4, 24
	v_add_nc_u32_e32 v5, v13, v5
	s_waitcnt vmcnt(0)
	v_add_co_u32 v8, vcc_lo, v8, v4
	v_mov_b32_e32 v4, v11
	v_add_co_ci_u32_e32 v9, vcc_lo, v9, v5, vcc_lo
	v_mov_b32_e32 v5, v12
	global_store_dwordx2 v[8:9], v[11:12], off
	s_waitcnt_vscnt null, 0x0
	global_atomic_cmpswap_x2 v[4:5], v10, v[2:5], s[6:7] offset:24 glc
	s_waitcnt vmcnt(0)
	v_cmp_ne_u64_e32 vcc_lo, v[4:5], v[11:12]
	s_and_b32 exec_lo, exec_lo, vcc_lo
	s_cbranch_execz .LBB0_26
; %bb.24:
	s_mov_b32 s4, 0
.LBB0_25:                               ; =>This Inner Loop Header: Depth=1
	s_sleep 1
	global_store_dwordx2 v[8:9], v[4:5], off
	s_waitcnt_vscnt null, 0x0
	global_atomic_cmpswap_x2 v[11:12], v10, v[2:5], s[6:7] offset:24 glc
	s_waitcnt vmcnt(0)
	v_cmp_eq_u64_e32 vcc_lo, v[11:12], v[4:5]
	v_mov_b32_e32 v4, v11
	v_mov_b32_e32 v5, v12
	s_or_b32 s4, vcc_lo, s4
	s_andn2_b32 exec_lo, exec_lo, s4
	s_cbranch_execnz .LBB0_25
.LBB0_26:
	s_or_b32 exec_lo, exec_lo, s5
	s_getpc_b64 s[8:9]
	s_add_u32 s8, s8, .str.5@rel32@lo+4
	s_addc_u32 s9, s9, .str.5@rel32@hi+12
	s_cmp_lg_u64 s[8:9], 0
	s_cbranch_scc0 .LBB0_105
; %bb.27:
	s_waitcnt vmcnt(0)
	v_and_b32_e32 v30, 2, v6
	v_mov_b32_e32 v9, 0
	v_and_b32_e32 v2, -3, v6
	v_mov_b32_e32 v3, v7
	v_mov_b32_e32 v10, 2
	;; [unrolled: 1-line block ×3, first 2 shown]
	s_mov_b64 s[10:11], 3
	s_branch .LBB0_29
.LBB0_28:                               ;   in Loop: Header=BB0_29 Depth=1
	s_or_b32 exec_lo, exec_lo, s5
	s_sub_u32 s10, s10, s12
	s_subb_u32 s11, s11, s13
	s_add_u32 s8, s8, s12
	s_addc_u32 s9, s9, s13
	s_cmp_lg_u64 s[10:11], 0
	s_cbranch_scc0 .LBB0_104
.LBB0_29:                               ; =>This Loop Header: Depth=1
                                        ;     Child Loop BB0_38 Depth 2
                                        ;     Child Loop BB0_34 Depth 2
	;; [unrolled: 1-line block ×11, first 2 shown]
	v_cmp_lt_u64_e64 s4, s[10:11], 56
	v_cmp_gt_u64_e64 s5, s[10:11], 7
                                        ; implicit-def: $vgpr4_vgpr5
                                        ; implicit-def: $sgpr18
	s_and_b32 s4, s4, exec_lo
	s_cselect_b32 s13, s11, 0
	s_cselect_b32 s12, s10, 56
	s_and_b32 vcc_lo, exec_lo, s5
	s_mov_b32 s4, -1
	s_cbranch_vccz .LBB0_36
; %bb.30:                               ;   in Loop: Header=BB0_29 Depth=1
	s_andn2_b32 vcc_lo, exec_lo, s4
	s_mov_b64 s[4:5], s[8:9]
	s_cbranch_vccz .LBB0_40
.LBB0_31:                               ;   in Loop: Header=BB0_29 Depth=1
	s_cmp_gt_u32 s18, 7
	s_cbranch_scc1 .LBB0_41
.LBB0_32:                               ;   in Loop: Header=BB0_29 Depth=1
	v_mov_b32_e32 v12, 0
	v_mov_b32_e32 v13, 0
	s_cmp_eq_u32 s18, 0
	s_cbranch_scc1 .LBB0_35
; %bb.33:                               ;   in Loop: Header=BB0_29 Depth=1
	s_mov_b64 s[14:15], 0
	s_mov_b64 s[16:17], 0
.LBB0_34:                               ;   Parent Loop BB0_29 Depth=1
                                        ; =>  This Inner Loop Header: Depth=2
	s_add_u32 s20, s4, s16
	s_addc_u32 s21, s5, s17
	s_add_u32 s16, s16, 1
	global_load_ubyte v8, v9, s[20:21]
	s_addc_u32 s17, s17, 0
	s_waitcnt vmcnt(0)
	v_and_b32_e32 v8, 0xffff, v8
	v_lshlrev_b64 v[14:15], s14, v[8:9]
	s_add_u32 s14, s14, 8
	s_addc_u32 s15, s15, 0
	s_cmp_lg_u32 s18, s16
	v_or_b32_e32 v12, v14, v12
	v_or_b32_e32 v13, v15, v13
	s_cbranch_scc1 .LBB0_34
.LBB0_35:                               ;   in Loop: Header=BB0_29 Depth=1
	s_mov_b32 s19, 0
	s_cbranch_execz .LBB0_42
	s_branch .LBB0_43
.LBB0_36:                               ;   in Loop: Header=BB0_29 Depth=1
	s_waitcnt vmcnt(0)
	v_mov_b32_e32 v4, 0
	v_mov_b32_e32 v5, 0
	s_cmp_eq_u64 s[10:11], 0
	s_mov_b64 s[4:5], 0
	s_cbranch_scc1 .LBB0_39
; %bb.37:                               ;   in Loop: Header=BB0_29 Depth=1
	v_mov_b32_e32 v4, 0
	v_mov_b32_e32 v5, 0
	s_lshl_b64 s[14:15], s[12:13], 3
	s_mov_b64 s[16:17], s[8:9]
.LBB0_38:                               ;   Parent Loop BB0_29 Depth=1
                                        ; =>  This Inner Loop Header: Depth=2
	global_load_ubyte v8, v9, s[16:17]
	s_waitcnt vmcnt(0)
	v_and_b32_e32 v8, 0xffff, v8
	v_lshlrev_b64 v[12:13], s4, v[8:9]
	s_add_u32 s4, s4, 8
	s_addc_u32 s5, s5, 0
	s_add_u32 s16, s16, 1
	s_addc_u32 s17, s17, 0
	s_cmp_lg_u32 s14, s4
	v_or_b32_e32 v4, v12, v4
	v_or_b32_e32 v5, v13, v5
	s_cbranch_scc1 .LBB0_38
.LBB0_39:                               ;   in Loop: Header=BB0_29 Depth=1
	s_mov_b32 s18, 0
	s_mov_b64 s[4:5], s[8:9]
	s_cbranch_execnz .LBB0_31
.LBB0_40:                               ;   in Loop: Header=BB0_29 Depth=1
	global_load_dwordx2 v[4:5], v9, s[8:9]
	s_add_i32 s18, s12, -8
	s_add_u32 s4, s8, 8
	s_addc_u32 s5, s9, 0
	s_cmp_gt_u32 s18, 7
	s_cbranch_scc0 .LBB0_32
.LBB0_41:                               ;   in Loop: Header=BB0_29 Depth=1
                                        ; implicit-def: $vgpr12_vgpr13
                                        ; implicit-def: $sgpr19
.LBB0_42:                               ;   in Loop: Header=BB0_29 Depth=1
	global_load_dwordx2 v[12:13], v9, s[4:5]
	s_add_i32 s19, s18, -8
	s_add_u32 s4, s4, 8
	s_addc_u32 s5, s5, 0
.LBB0_43:                               ;   in Loop: Header=BB0_29 Depth=1
	s_cmp_gt_u32 s19, 7
	s_cbranch_scc1 .LBB0_48
; %bb.44:                               ;   in Loop: Header=BB0_29 Depth=1
	v_mov_b32_e32 v14, 0
	v_mov_b32_e32 v15, 0
	s_cmp_eq_u32 s19, 0
	s_cbranch_scc1 .LBB0_47
; %bb.45:                               ;   in Loop: Header=BB0_29 Depth=1
	s_mov_b64 s[14:15], 0
	s_mov_b64 s[16:17], 0
.LBB0_46:                               ;   Parent Loop BB0_29 Depth=1
                                        ; =>  This Inner Loop Header: Depth=2
	s_add_u32 s20, s4, s16
	s_addc_u32 s21, s5, s17
	s_add_u32 s16, s16, 1
	global_load_ubyte v8, v9, s[20:21]
	s_addc_u32 s17, s17, 0
	s_waitcnt vmcnt(0)
	v_and_b32_e32 v8, 0xffff, v8
	v_lshlrev_b64 v[16:17], s14, v[8:9]
	s_add_u32 s14, s14, 8
	s_addc_u32 s15, s15, 0
	s_cmp_lg_u32 s19, s16
	v_or_b32_e32 v14, v16, v14
	v_or_b32_e32 v15, v17, v15
	s_cbranch_scc1 .LBB0_46
.LBB0_47:                               ;   in Loop: Header=BB0_29 Depth=1
	s_mov_b32 s18, 0
	s_cbranch_execz .LBB0_49
	s_branch .LBB0_50
.LBB0_48:                               ;   in Loop: Header=BB0_29 Depth=1
                                        ; implicit-def: $sgpr18
.LBB0_49:                               ;   in Loop: Header=BB0_29 Depth=1
	global_load_dwordx2 v[14:15], v9, s[4:5]
	s_add_i32 s18, s19, -8
	s_add_u32 s4, s4, 8
	s_addc_u32 s5, s5, 0
.LBB0_50:                               ;   in Loop: Header=BB0_29 Depth=1
	s_cmp_gt_u32 s18, 7
	s_cbranch_scc1 .LBB0_55
; %bb.51:                               ;   in Loop: Header=BB0_29 Depth=1
	v_mov_b32_e32 v16, 0
	v_mov_b32_e32 v17, 0
	s_cmp_eq_u32 s18, 0
	s_cbranch_scc1 .LBB0_54
; %bb.52:                               ;   in Loop: Header=BB0_29 Depth=1
	s_mov_b64 s[14:15], 0
	s_mov_b64 s[16:17], 0
.LBB0_53:                               ;   Parent Loop BB0_29 Depth=1
                                        ; =>  This Inner Loop Header: Depth=2
	s_add_u32 s20, s4, s16
	s_addc_u32 s21, s5, s17
	s_add_u32 s16, s16, 1
	global_load_ubyte v8, v9, s[20:21]
	s_addc_u32 s17, s17, 0
	s_waitcnt vmcnt(0)
	v_and_b32_e32 v8, 0xffff, v8
	v_lshlrev_b64 v[18:19], s14, v[8:9]
	s_add_u32 s14, s14, 8
	s_addc_u32 s15, s15, 0
	s_cmp_lg_u32 s18, s16
	v_or_b32_e32 v16, v18, v16
	v_or_b32_e32 v17, v19, v17
	s_cbranch_scc1 .LBB0_53
.LBB0_54:                               ;   in Loop: Header=BB0_29 Depth=1
	s_mov_b32 s19, 0
	s_cbranch_execz .LBB0_56
	s_branch .LBB0_57
.LBB0_55:                               ;   in Loop: Header=BB0_29 Depth=1
                                        ; implicit-def: $vgpr16_vgpr17
                                        ; implicit-def: $sgpr19
.LBB0_56:                               ;   in Loop: Header=BB0_29 Depth=1
	global_load_dwordx2 v[16:17], v9, s[4:5]
	s_add_i32 s19, s18, -8
	s_add_u32 s4, s4, 8
	s_addc_u32 s5, s5, 0
.LBB0_57:                               ;   in Loop: Header=BB0_29 Depth=1
	s_cmp_gt_u32 s19, 7
	s_cbranch_scc1 .LBB0_62
; %bb.58:                               ;   in Loop: Header=BB0_29 Depth=1
	v_mov_b32_e32 v18, 0
	v_mov_b32_e32 v19, 0
	s_cmp_eq_u32 s19, 0
	s_cbranch_scc1 .LBB0_61
; %bb.59:                               ;   in Loop: Header=BB0_29 Depth=1
	s_mov_b64 s[14:15], 0
	s_mov_b64 s[16:17], 0
.LBB0_60:                               ;   Parent Loop BB0_29 Depth=1
                                        ; =>  This Inner Loop Header: Depth=2
	s_add_u32 s20, s4, s16
	s_addc_u32 s21, s5, s17
	s_add_u32 s16, s16, 1
	global_load_ubyte v8, v9, s[20:21]
	s_addc_u32 s17, s17, 0
	s_waitcnt vmcnt(0)
	v_and_b32_e32 v8, 0xffff, v8
	v_lshlrev_b64 v[20:21], s14, v[8:9]
	s_add_u32 s14, s14, 8
	s_addc_u32 s15, s15, 0
	s_cmp_lg_u32 s19, s16
	v_or_b32_e32 v18, v20, v18
	v_or_b32_e32 v19, v21, v19
	s_cbranch_scc1 .LBB0_60
.LBB0_61:                               ;   in Loop: Header=BB0_29 Depth=1
	s_mov_b32 s18, 0
	s_cbranch_execz .LBB0_63
	s_branch .LBB0_64
.LBB0_62:                               ;   in Loop: Header=BB0_29 Depth=1
                                        ; implicit-def: $sgpr18
.LBB0_63:                               ;   in Loop: Header=BB0_29 Depth=1
	global_load_dwordx2 v[18:19], v9, s[4:5]
	s_add_i32 s18, s19, -8
	s_add_u32 s4, s4, 8
	s_addc_u32 s5, s5, 0
.LBB0_64:                               ;   in Loop: Header=BB0_29 Depth=1
	s_cmp_gt_u32 s18, 7
	s_cbranch_scc1 .LBB0_69
; %bb.65:                               ;   in Loop: Header=BB0_29 Depth=1
	v_mov_b32_e32 v20, 0
	v_mov_b32_e32 v21, 0
	s_cmp_eq_u32 s18, 0
	s_cbranch_scc1 .LBB0_68
; %bb.66:                               ;   in Loop: Header=BB0_29 Depth=1
	s_mov_b64 s[14:15], 0
	s_mov_b64 s[16:17], 0
.LBB0_67:                               ;   Parent Loop BB0_29 Depth=1
                                        ; =>  This Inner Loop Header: Depth=2
	s_add_u32 s20, s4, s16
	s_addc_u32 s21, s5, s17
	s_add_u32 s16, s16, 1
	global_load_ubyte v8, v9, s[20:21]
	s_addc_u32 s17, s17, 0
	s_waitcnt vmcnt(0)
	v_and_b32_e32 v8, 0xffff, v8
	v_lshlrev_b64 v[22:23], s14, v[8:9]
	s_add_u32 s14, s14, 8
	s_addc_u32 s15, s15, 0
	s_cmp_lg_u32 s18, s16
	v_or_b32_e32 v20, v22, v20
	v_or_b32_e32 v21, v23, v21
	s_cbranch_scc1 .LBB0_67
.LBB0_68:                               ;   in Loop: Header=BB0_29 Depth=1
	s_mov_b32 s19, 0
	s_cbranch_execz .LBB0_70
	s_branch .LBB0_71
.LBB0_69:                               ;   in Loop: Header=BB0_29 Depth=1
                                        ; implicit-def: $vgpr20_vgpr21
                                        ; implicit-def: $sgpr19
.LBB0_70:                               ;   in Loop: Header=BB0_29 Depth=1
	global_load_dwordx2 v[20:21], v9, s[4:5]
	s_add_i32 s19, s18, -8
	s_add_u32 s4, s4, 8
	s_addc_u32 s5, s5, 0
.LBB0_71:                               ;   in Loop: Header=BB0_29 Depth=1
	s_cmp_gt_u32 s19, 7
	s_cbranch_scc1 .LBB0_76
; %bb.72:                               ;   in Loop: Header=BB0_29 Depth=1
	v_mov_b32_e32 v22, 0
	v_mov_b32_e32 v23, 0
	s_cmp_eq_u32 s19, 0
	s_cbranch_scc1 .LBB0_75
; %bb.73:                               ;   in Loop: Header=BB0_29 Depth=1
	s_mov_b64 s[14:15], 0
	s_mov_b64 s[16:17], s[4:5]
.LBB0_74:                               ;   Parent Loop BB0_29 Depth=1
                                        ; =>  This Inner Loop Header: Depth=2
	global_load_ubyte v8, v9, s[16:17]
	s_add_i32 s19, s19, -1
	s_waitcnt vmcnt(0)
	v_and_b32_e32 v8, 0xffff, v8
	v_lshlrev_b64 v[24:25], s14, v[8:9]
	s_add_u32 s14, s14, 8
	s_addc_u32 s15, s15, 0
	s_add_u32 s16, s16, 1
	s_addc_u32 s17, s17, 0
	s_cmp_lg_u32 s19, 0
	v_or_b32_e32 v22, v24, v22
	v_or_b32_e32 v23, v25, v23
	s_cbranch_scc1 .LBB0_74
.LBB0_75:                               ;   in Loop: Header=BB0_29 Depth=1
	s_cbranch_execz .LBB0_77
	s_branch .LBB0_78
.LBB0_76:                               ;   in Loop: Header=BB0_29 Depth=1
.LBB0_77:                               ;   in Loop: Header=BB0_29 Depth=1
	global_load_dwordx2 v[22:23], v9, s[4:5]
.LBB0_78:                               ;   in Loop: Header=BB0_29 Depth=1
	v_readfirstlane_b32 s4, v33
	v_mov_b32_e32 v28, 0
	v_mov_b32_e32 v29, 0
	v_cmp_eq_u32_e64 s4, s4, v33
	s_and_saveexec_b32 s5, s4
	s_cbranch_execz .LBB0_84
; %bb.79:                               ;   in Loop: Header=BB0_29 Depth=1
	global_load_dwordx2 v[26:27], v9, s[6:7] offset:24 glc dlc
	s_waitcnt vmcnt(0)
	buffer_gl1_inv
	buffer_gl0_inv
	s_clause 0x1
	global_load_dwordx2 v[24:25], v9, s[6:7] offset:40
	global_load_dwordx2 v[28:29], v9, s[6:7]
	s_mov_b32 s14, exec_lo
	s_waitcnt vmcnt(1)
	v_and_b32_e32 v8, v25, v27
	v_and_b32_e32 v24, v24, v26
	v_mul_lo_u32 v8, v8, 24
	v_mul_hi_u32 v25, v24, 24
	v_mul_lo_u32 v24, v24, 24
	v_add_nc_u32_e32 v8, v25, v8
	s_waitcnt vmcnt(0)
	v_add_co_u32 v24, vcc_lo, v28, v24
	v_add_co_ci_u32_e32 v25, vcc_lo, v29, v8, vcc_lo
	global_load_dwordx2 v[24:25], v[24:25], off glc dlc
	s_waitcnt vmcnt(0)
	global_atomic_cmpswap_x2 v[28:29], v9, v[24:27], s[6:7] offset:24 glc
	s_waitcnt vmcnt(0)
	buffer_gl1_inv
	buffer_gl0_inv
	v_cmpx_ne_u64_e64 v[28:29], v[26:27]
	s_cbranch_execz .LBB0_83
; %bb.80:                               ;   in Loop: Header=BB0_29 Depth=1
	s_mov_b32 s15, 0
	.p2align	6
.LBB0_81:                               ;   Parent Loop BB0_29 Depth=1
                                        ; =>  This Inner Loop Header: Depth=2
	s_sleep 1
	s_clause 0x1
	global_load_dwordx2 v[24:25], v9, s[6:7] offset:40
	global_load_dwordx2 v[34:35], v9, s[6:7]
	v_mov_b32_e32 v26, v28
	v_mov_b32_e32 v27, v29
	s_waitcnt vmcnt(1)
	v_and_b32_e32 v8, v24, v26
	v_and_b32_e32 v24, v25, v27
	s_waitcnt vmcnt(0)
	v_mad_u64_u32 v[28:29], null, v8, 24, v[34:35]
	v_mov_b32_e32 v8, v29
	v_mad_u64_u32 v[24:25], null, v24, 24, v[8:9]
	v_mov_b32_e32 v29, v24
	global_load_dwordx2 v[24:25], v[28:29], off glc dlc
	s_waitcnt vmcnt(0)
	global_atomic_cmpswap_x2 v[28:29], v9, v[24:27], s[6:7] offset:24 glc
	s_waitcnt vmcnt(0)
	buffer_gl1_inv
	buffer_gl0_inv
	v_cmp_eq_u64_e32 vcc_lo, v[28:29], v[26:27]
	s_or_b32 s15, vcc_lo, s15
	s_andn2_b32 exec_lo, exec_lo, s15
	s_cbranch_execnz .LBB0_81
; %bb.82:                               ;   in Loop: Header=BB0_29 Depth=1
	s_or_b32 exec_lo, exec_lo, s15
.LBB0_83:                               ;   in Loop: Header=BB0_29 Depth=1
	s_or_b32 exec_lo, exec_lo, s14
.LBB0_84:                               ;   in Loop: Header=BB0_29 Depth=1
	s_or_b32 exec_lo, exec_lo, s5
	s_clause 0x1
	global_load_dwordx2 v[34:35], v9, s[6:7] offset:40
	global_load_dwordx4 v[24:27], v9, s[6:7]
	v_readfirstlane_b32 s14, v28
	v_readfirstlane_b32 s15, v29
	s_mov_b32 s5, exec_lo
	s_waitcnt vmcnt(1)
	v_readfirstlane_b32 s16, v34
	v_readfirstlane_b32 s17, v35
	s_and_b64 s[16:17], s[14:15], s[16:17]
	s_mul_i32 s18, s17, 24
	s_mul_hi_u32 s19, s16, 24
	s_mul_i32 s20, s16, 24
	s_add_i32 s19, s19, s18
	s_waitcnt vmcnt(0)
	v_add_co_u32 v28, vcc_lo, v24, s20
	v_add_co_ci_u32_e32 v29, vcc_lo, s19, v25, vcc_lo
	s_and_saveexec_b32 s18, s4
	s_cbranch_execz .LBB0_86
; %bb.85:                               ;   in Loop: Header=BB0_29 Depth=1
	v_mov_b32_e32 v8, s5
	global_store_dwordx4 v[28:29], v[8:11], off offset:8
.LBB0_86:                               ;   in Loop: Header=BB0_29 Depth=1
	s_or_b32 exec_lo, exec_lo, s18
	s_lshl_b64 s[16:17], s[16:17], 12
	v_cmp_gt_u64_e64 vcc_lo, s[10:11], 56
	v_or_b32_e32 v31, v2, v30
	v_add_co_u32 v26, s5, v26, s16
	v_add_co_ci_u32_e64 v27, s5, s17, v27, s5
	s_lshl_b32 s5, s12, 2
	v_or_b32_e32 v8, 0, v3
	v_cndmask_b32_e32 v2, v31, v2, vcc_lo
	s_add_i32 s5, s5, 28
	v_readfirstlane_b32 s16, v26
	s_and_b32 s5, s5, 0x1e0
	v_cndmask_b32_e32 v3, v8, v3, vcc_lo
	v_readfirstlane_b32 s17, v27
	v_and_or_b32 v2, 0xffffff1f, v2, s5
	global_store_dwordx4 v32, v[2:5], s[16:17]
	global_store_dwordx4 v32, v[12:15], s[16:17] offset:16
	global_store_dwordx4 v32, v[16:19], s[16:17] offset:32
	;; [unrolled: 1-line block ×3, first 2 shown]
	s_and_saveexec_b32 s5, s4
	s_cbranch_execz .LBB0_94
; %bb.87:                               ;   in Loop: Header=BB0_29 Depth=1
	s_clause 0x1
	global_load_dwordx2 v[16:17], v9, s[6:7] offset:32 glc dlc
	global_load_dwordx2 v[2:3], v9, s[6:7] offset:40
	v_mov_b32_e32 v14, s14
	v_mov_b32_e32 v15, s15
	s_waitcnt vmcnt(0)
	v_readfirstlane_b32 s16, v2
	v_readfirstlane_b32 s17, v3
	s_and_b64 s[16:17], s[16:17], s[14:15]
	s_mul_i32 s17, s17, 24
	s_mul_hi_u32 s18, s16, 24
	s_mul_i32 s16, s16, 24
	s_add_i32 s18, s18, s17
	v_add_co_u32 v12, vcc_lo, v24, s16
	v_add_co_ci_u32_e32 v13, vcc_lo, s18, v25, vcc_lo
	s_mov_b32 s16, exec_lo
	global_store_dwordx2 v[12:13], v[16:17], off
	s_waitcnt_vscnt null, 0x0
	global_atomic_cmpswap_x2 v[4:5], v9, v[14:17], s[6:7] offset:32 glc
	s_waitcnt vmcnt(0)
	v_cmpx_ne_u64_e64 v[4:5], v[16:17]
	s_cbranch_execz .LBB0_90
; %bb.88:                               ;   in Loop: Header=BB0_29 Depth=1
	s_mov_b32 s17, 0
.LBB0_89:                               ;   Parent Loop BB0_29 Depth=1
                                        ; =>  This Inner Loop Header: Depth=2
	v_mov_b32_e32 v2, s14
	v_mov_b32_e32 v3, s15
	s_sleep 1
	global_store_dwordx2 v[12:13], v[4:5], off
	s_waitcnt_vscnt null, 0x0
	global_atomic_cmpswap_x2 v[2:3], v9, v[2:5], s[6:7] offset:32 glc
	s_waitcnt vmcnt(0)
	v_cmp_eq_u64_e32 vcc_lo, v[2:3], v[4:5]
	v_mov_b32_e32 v5, v3
	v_mov_b32_e32 v4, v2
	s_or_b32 s17, vcc_lo, s17
	s_andn2_b32 exec_lo, exec_lo, s17
	s_cbranch_execnz .LBB0_89
.LBB0_90:                               ;   in Loop: Header=BB0_29 Depth=1
	s_or_b32 exec_lo, exec_lo, s16
	global_load_dwordx2 v[2:3], v9, s[6:7] offset:16
	s_mov_b32 s17, exec_lo
	s_mov_b32 s16, exec_lo
	v_mbcnt_lo_u32_b32 v4, s17, 0
	v_cmpx_eq_u32_e32 0, v4
	s_cbranch_execz .LBB0_92
; %bb.91:                               ;   in Loop: Header=BB0_29 Depth=1
	s_bcnt1_i32_b32 s17, s17
	v_mov_b32_e32 v8, s17
	s_waitcnt vmcnt(0)
	global_atomic_add_x2 v[2:3], v[8:9], off offset:8
.LBB0_92:                               ;   in Loop: Header=BB0_29 Depth=1
	s_or_b32 exec_lo, exec_lo, s16
	s_waitcnt vmcnt(0)
	global_load_dwordx2 v[4:5], v[2:3], off offset:16
	s_waitcnt vmcnt(0)
	v_cmp_eq_u64_e32 vcc_lo, 0, v[4:5]
	s_cbranch_vccnz .LBB0_94
; %bb.93:                               ;   in Loop: Header=BB0_29 Depth=1
	global_load_dword v8, v[2:3], off offset:24
	s_waitcnt vmcnt(0)
	v_and_b32_e32 v2, 0x7fffff, v8
	s_waitcnt_vscnt null, 0x0
	global_store_dwordx2 v[4:5], v[8:9], off
	v_readfirstlane_b32 m0, v2
	s_sendmsg sendmsg(MSG_INTERRUPT)
.LBB0_94:                               ;   in Loop: Header=BB0_29 Depth=1
	s_or_b32 exec_lo, exec_lo, s5
	v_add_co_u32 v2, vcc_lo, v26, v32
	v_add_co_ci_u32_e32 v3, vcc_lo, 0, v27, vcc_lo
	s_branch .LBB0_98
	.p2align	6
.LBB0_95:                               ;   in Loop: Header=BB0_98 Depth=2
	s_or_b32 exec_lo, exec_lo, s5
	v_readfirstlane_b32 s5, v4
	s_cmp_eq_u32 s5, 0
	s_cbranch_scc1 .LBB0_97
; %bb.96:                               ;   in Loop: Header=BB0_98 Depth=2
	s_sleep 1
	s_cbranch_execnz .LBB0_98
	s_branch .LBB0_100
	.p2align	6
.LBB0_97:                               ;   in Loop: Header=BB0_29 Depth=1
	s_branch .LBB0_100
.LBB0_98:                               ;   Parent Loop BB0_29 Depth=1
                                        ; =>  This Inner Loop Header: Depth=2
	v_mov_b32_e32 v4, 1
	s_and_saveexec_b32 s5, s4
	s_cbranch_execz .LBB0_95
; %bb.99:                               ;   in Loop: Header=BB0_98 Depth=2
	global_load_dword v4, v[28:29], off offset:20 glc dlc
	s_waitcnt vmcnt(0)
	buffer_gl1_inv
	buffer_gl0_inv
	v_and_b32_e32 v4, 1, v4
	s_branch .LBB0_95
.LBB0_100:                              ;   in Loop: Header=BB0_29 Depth=1
	global_load_dwordx4 v[2:5], v[2:3], off
	s_and_saveexec_b32 s5, s4
	s_cbranch_execz .LBB0_28
; %bb.101:                              ;   in Loop: Header=BB0_29 Depth=1
	s_clause 0x2
	global_load_dwordx2 v[4:5], v9, s[6:7] offset:40
	global_load_dwordx2 v[16:17], v9, s[6:7] offset:24 glc dlc
	global_load_dwordx2 v[14:15], v9, s[6:7]
	s_waitcnt vmcnt(2)
	v_add_co_u32 v8, vcc_lo, v4, 1
	v_add_co_ci_u32_e32 v18, vcc_lo, 0, v5, vcc_lo
	v_add_co_u32 v12, vcc_lo, v8, s14
	v_add_co_ci_u32_e32 v13, vcc_lo, s15, v18, vcc_lo
	v_cmp_eq_u64_e32 vcc_lo, 0, v[12:13]
	v_cndmask_b32_e32 v13, v13, v18, vcc_lo
	v_cndmask_b32_e32 v12, v12, v8, vcc_lo
	v_and_b32_e32 v5, v13, v5
	v_and_b32_e32 v4, v12, v4
	v_mul_lo_u32 v5, v5, 24
	v_mul_hi_u32 v8, v4, 24
	v_mul_lo_u32 v4, v4, 24
	v_add_nc_u32_e32 v5, v8, v5
	s_waitcnt vmcnt(0)
	v_add_co_u32 v4, vcc_lo, v14, v4
	v_mov_b32_e32 v14, v16
	v_add_co_ci_u32_e32 v5, vcc_lo, v15, v5, vcc_lo
	v_mov_b32_e32 v15, v17
	global_store_dwordx2 v[4:5], v[16:17], off
	s_waitcnt_vscnt null, 0x0
	global_atomic_cmpswap_x2 v[14:15], v9, v[12:15], s[6:7] offset:24 glc
	s_waitcnt vmcnt(0)
	v_cmp_ne_u64_e32 vcc_lo, v[14:15], v[16:17]
	s_and_b32 exec_lo, exec_lo, vcc_lo
	s_cbranch_execz .LBB0_28
; %bb.102:                              ;   in Loop: Header=BB0_29 Depth=1
	s_mov_b32 s4, 0
.LBB0_103:                              ;   Parent Loop BB0_29 Depth=1
                                        ; =>  This Inner Loop Header: Depth=2
	s_sleep 1
	global_store_dwordx2 v[4:5], v[14:15], off
	s_waitcnt_vscnt null, 0x0
	global_atomic_cmpswap_x2 v[16:17], v9, v[12:15], s[6:7] offset:24 glc
	s_waitcnt vmcnt(0)
	v_cmp_eq_u64_e32 vcc_lo, v[16:17], v[14:15]
	v_mov_b32_e32 v14, v16
	v_mov_b32_e32 v15, v17
	s_or_b32 s4, vcc_lo, s4
	s_andn2_b32 exec_lo, exec_lo, s4
	s_cbranch_execnz .LBB0_103
	s_branch .LBB0_28
.LBB0_104:
	s_branch .LBB0_133
.LBB0_105:
                                        ; implicit-def: $vgpr2_vgpr3
	s_cbranch_execz .LBB0_133
; %bb.106:
	v_readfirstlane_b32 s4, v33
	v_mov_b32_e32 v9, 0
	v_mov_b32_e32 v10, 0
	v_cmp_eq_u32_e64 s4, s4, v33
	s_and_saveexec_b32 s5, s4
	s_cbranch_execz .LBB0_112
; %bb.107:
	s_waitcnt vmcnt(0)
	v_mov_b32_e32 v2, 0
	s_mov_b32 s8, exec_lo
	global_load_dwordx2 v[11:12], v2, s[6:7] offset:24 glc dlc
	s_waitcnt vmcnt(0)
	buffer_gl1_inv
	buffer_gl0_inv
	s_clause 0x1
	global_load_dwordx2 v[3:4], v2, s[6:7] offset:40
	global_load_dwordx2 v[8:9], v2, s[6:7]
	s_waitcnt vmcnt(1)
	v_and_b32_e32 v4, v4, v12
	v_and_b32_e32 v3, v3, v11
	v_mul_lo_u32 v4, v4, 24
	v_mul_hi_u32 v5, v3, 24
	v_mul_lo_u32 v3, v3, 24
	v_add_nc_u32_e32 v4, v5, v4
	s_waitcnt vmcnt(0)
	v_add_co_u32 v3, vcc_lo, v8, v3
	v_add_co_ci_u32_e32 v4, vcc_lo, v9, v4, vcc_lo
	global_load_dwordx2 v[9:10], v[3:4], off glc dlc
	s_waitcnt vmcnt(0)
	global_atomic_cmpswap_x2 v[9:10], v2, v[9:12], s[6:7] offset:24 glc
	s_waitcnt vmcnt(0)
	buffer_gl1_inv
	buffer_gl0_inv
	v_cmpx_ne_u64_e64 v[9:10], v[11:12]
	s_cbranch_execz .LBB0_111
; %bb.108:
	s_mov_b32 s9, 0
	.p2align	6
.LBB0_109:                              ; =>This Inner Loop Header: Depth=1
	s_sleep 1
	s_clause 0x1
	global_load_dwordx2 v[3:4], v2, s[6:7] offset:40
	global_load_dwordx2 v[13:14], v2, s[6:7]
	v_mov_b32_e32 v12, v10
	v_mov_b32_e32 v11, v9
	s_waitcnt vmcnt(1)
	v_and_b32_e32 v3, v3, v11
	v_and_b32_e32 v4, v4, v12
	s_waitcnt vmcnt(0)
	v_mad_u64_u32 v[8:9], null, v3, 24, v[13:14]
	v_mov_b32_e32 v3, v9
	v_mad_u64_u32 v[3:4], null, v4, 24, v[3:4]
	v_mov_b32_e32 v9, v3
	global_load_dwordx2 v[9:10], v[8:9], off glc dlc
	s_waitcnt vmcnt(0)
	global_atomic_cmpswap_x2 v[9:10], v2, v[9:12], s[6:7] offset:24 glc
	s_waitcnt vmcnt(0)
	buffer_gl1_inv
	buffer_gl0_inv
	v_cmp_eq_u64_e32 vcc_lo, v[9:10], v[11:12]
	s_or_b32 s9, vcc_lo, s9
	s_andn2_b32 exec_lo, exec_lo, s9
	s_cbranch_execnz .LBB0_109
; %bb.110:
	s_or_b32 exec_lo, exec_lo, s9
.LBB0_111:
	s_or_b32 exec_lo, exec_lo, s8
.LBB0_112:
	s_or_b32 exec_lo, exec_lo, s5
	v_mov_b32_e32 v8, 0
	v_readfirstlane_b32 s8, v9
	v_readfirstlane_b32 s9, v10
	s_mov_b32 s5, exec_lo
	s_clause 0x1
	global_load_dwordx2 v[11:12], v8, s[6:7] offset:40
	global_load_dwordx4 v[2:5], v8, s[6:7]
	s_waitcnt vmcnt(1)
	v_readfirstlane_b32 s10, v11
	v_readfirstlane_b32 s11, v12
	s_and_b64 s[10:11], s[8:9], s[10:11]
	s_mul_i32 s12, s11, 24
	s_mul_hi_u32 s13, s10, 24
	s_mul_i32 s14, s10, 24
	s_add_i32 s13, s13, s12
	s_waitcnt vmcnt(0)
	v_add_co_u32 v10, vcc_lo, v2, s14
	v_add_co_ci_u32_e32 v11, vcc_lo, s13, v3, vcc_lo
	s_and_saveexec_b32 s12, s4
	s_cbranch_execz .LBB0_114
; %bb.113:
	v_mov_b32_e32 v12, s5
	v_mov_b32_e32 v13, v8
	;; [unrolled: 1-line block ×4, first 2 shown]
	global_store_dwordx4 v[10:11], v[12:15], off offset:8
.LBB0_114:
	s_or_b32 exec_lo, exec_lo, s12
	s_lshl_b64 s[10:11], s[10:11], 12
	s_mov_b32 s12, 0
	v_add_co_u32 v4, vcc_lo, v4, s10
	v_add_co_ci_u32_e32 v5, vcc_lo, s11, v5, vcc_lo
	s_mov_b32 s15, s12
	v_add_co_u32 v12, vcc_lo, v4, v32
	s_mov_b32 s13, s12
	s_mov_b32 s14, s12
	v_and_or_b32 v6, 0xffffff1f, v6, 32
	v_mov_b32_e32 v9, v8
	v_readfirstlane_b32 s10, v4
	v_readfirstlane_b32 s11, v5
	v_mov_b32_e32 v17, s15
	v_add_co_ci_u32_e32 v13, vcc_lo, 0, v5, vcc_lo
	v_mov_b32_e32 v16, s14
	v_mov_b32_e32 v15, s13
	;; [unrolled: 1-line block ×3, first 2 shown]
	global_store_dwordx4 v32, v[6:9], s[10:11]
	global_store_dwordx4 v32, v[14:17], s[10:11] offset:16
	global_store_dwordx4 v32, v[14:17], s[10:11] offset:32
	;; [unrolled: 1-line block ×3, first 2 shown]
	s_and_saveexec_b32 s5, s4
	s_cbranch_execz .LBB0_122
; %bb.115:
	v_mov_b32_e32 v8, 0
	v_mov_b32_e32 v14, s8
	;; [unrolled: 1-line block ×3, first 2 shown]
	s_clause 0x1
	global_load_dwordx2 v[16:17], v8, s[6:7] offset:32 glc dlc
	global_load_dwordx2 v[4:5], v8, s[6:7] offset:40
	s_waitcnt vmcnt(0)
	v_readfirstlane_b32 s10, v4
	v_readfirstlane_b32 s11, v5
	s_and_b64 s[10:11], s[10:11], s[8:9]
	s_mul_i32 s11, s11, 24
	s_mul_hi_u32 s12, s10, 24
	s_mul_i32 s10, s10, 24
	s_add_i32 s12, s12, s11
	v_add_co_u32 v6, vcc_lo, v2, s10
	v_add_co_ci_u32_e32 v7, vcc_lo, s12, v3, vcc_lo
	s_mov_b32 s10, exec_lo
	global_store_dwordx2 v[6:7], v[16:17], off
	s_waitcnt_vscnt null, 0x0
	global_atomic_cmpswap_x2 v[4:5], v8, v[14:17], s[6:7] offset:32 glc
	s_waitcnt vmcnt(0)
	v_cmpx_ne_u64_e64 v[4:5], v[16:17]
	s_cbranch_execz .LBB0_118
; %bb.116:
	s_mov_b32 s11, 0
.LBB0_117:                              ; =>This Inner Loop Header: Depth=1
	v_mov_b32_e32 v2, s8
	v_mov_b32_e32 v3, s9
	s_sleep 1
	global_store_dwordx2 v[6:7], v[4:5], off
	s_waitcnt_vscnt null, 0x0
	global_atomic_cmpswap_x2 v[2:3], v8, v[2:5], s[6:7] offset:32 glc
	s_waitcnt vmcnt(0)
	v_cmp_eq_u64_e32 vcc_lo, v[2:3], v[4:5]
	v_mov_b32_e32 v5, v3
	v_mov_b32_e32 v4, v2
	s_or_b32 s11, vcc_lo, s11
	s_andn2_b32 exec_lo, exec_lo, s11
	s_cbranch_execnz .LBB0_117
.LBB0_118:
	s_or_b32 exec_lo, exec_lo, s10
	v_mov_b32_e32 v5, 0
	s_mov_b32 s11, exec_lo
	s_mov_b32 s10, exec_lo
	v_mbcnt_lo_u32_b32 v4, s11, 0
	global_load_dwordx2 v[2:3], v5, s[6:7] offset:16
	v_cmpx_eq_u32_e32 0, v4
	s_cbranch_execz .LBB0_120
; %bb.119:
	s_bcnt1_i32_b32 s11, s11
	v_mov_b32_e32 v4, s11
	s_waitcnt vmcnt(0)
	global_atomic_add_x2 v[2:3], v[4:5], off offset:8
.LBB0_120:
	s_or_b32 exec_lo, exec_lo, s10
	s_waitcnt vmcnt(0)
	global_load_dwordx2 v[4:5], v[2:3], off offset:16
	s_waitcnt vmcnt(0)
	v_cmp_eq_u64_e32 vcc_lo, 0, v[4:5]
	s_cbranch_vccnz .LBB0_122
; %bb.121:
	global_load_dword v2, v[2:3], off offset:24
	v_mov_b32_e32 v3, 0
	s_waitcnt vmcnt(0)
	v_and_b32_e32 v6, 0x7fffff, v2
	s_waitcnt_vscnt null, 0x0
	global_store_dwordx2 v[4:5], v[2:3], off
	v_readfirstlane_b32 m0, v6
	s_sendmsg sendmsg(MSG_INTERRUPT)
.LBB0_122:
	s_or_b32 exec_lo, exec_lo, s5
	s_branch .LBB0_126
	.p2align	6
.LBB0_123:                              ;   in Loop: Header=BB0_126 Depth=1
	s_or_b32 exec_lo, exec_lo, s5
	v_readfirstlane_b32 s5, v2
	s_cmp_eq_u32 s5, 0
	s_cbranch_scc1 .LBB0_125
; %bb.124:                              ;   in Loop: Header=BB0_126 Depth=1
	s_sleep 1
	s_cbranch_execnz .LBB0_126
	s_branch .LBB0_128
	.p2align	6
.LBB0_125:
	s_branch .LBB0_128
.LBB0_126:                              ; =>This Inner Loop Header: Depth=1
	v_mov_b32_e32 v2, 1
	s_and_saveexec_b32 s5, s4
	s_cbranch_execz .LBB0_123
; %bb.127:                              ;   in Loop: Header=BB0_126 Depth=1
	global_load_dword v2, v[10:11], off offset:20 glc dlc
	s_waitcnt vmcnt(0)
	buffer_gl1_inv
	buffer_gl0_inv
	v_and_b32_e32 v2, 1, v2
	s_branch .LBB0_123
.LBB0_128:
	global_load_dwordx2 v[2:3], v[12:13], off
	s_and_saveexec_b32 s5, s4
	s_cbranch_execz .LBB0_132
; %bb.129:
	v_mov_b32_e32 v10, 0
	s_clause 0x2
	global_load_dwordx2 v[6:7], v10, s[6:7] offset:40
	global_load_dwordx2 v[11:12], v10, s[6:7] offset:24 glc dlc
	global_load_dwordx2 v[8:9], v10, s[6:7]
	s_waitcnt vmcnt(2)
	v_add_co_u32 v13, vcc_lo, v6, 1
	v_add_co_ci_u32_e32 v14, vcc_lo, 0, v7, vcc_lo
	v_add_co_u32 v4, vcc_lo, v13, s8
	v_add_co_ci_u32_e32 v5, vcc_lo, s9, v14, vcc_lo
	v_cmp_eq_u64_e32 vcc_lo, 0, v[4:5]
	v_cndmask_b32_e32 v5, v5, v14, vcc_lo
	v_cndmask_b32_e32 v4, v4, v13, vcc_lo
	v_and_b32_e32 v7, v5, v7
	v_and_b32_e32 v6, v4, v6
	v_mul_lo_u32 v7, v7, 24
	v_mul_hi_u32 v13, v6, 24
	v_mul_lo_u32 v6, v6, 24
	v_add_nc_u32_e32 v7, v13, v7
	s_waitcnt vmcnt(0)
	v_add_co_u32 v8, vcc_lo, v8, v6
	v_mov_b32_e32 v6, v11
	v_add_co_ci_u32_e32 v9, vcc_lo, v9, v7, vcc_lo
	v_mov_b32_e32 v7, v12
	global_store_dwordx2 v[8:9], v[11:12], off
	s_waitcnt_vscnt null, 0x0
	global_atomic_cmpswap_x2 v[6:7], v10, v[4:7], s[6:7] offset:24 glc
	s_waitcnt vmcnt(0)
	v_cmp_ne_u64_e32 vcc_lo, v[6:7], v[11:12]
	s_and_b32 exec_lo, exec_lo, vcc_lo
	s_cbranch_execz .LBB0_132
; %bb.130:
	s_mov_b32 s4, 0
.LBB0_131:                              ; =>This Inner Loop Header: Depth=1
	s_sleep 1
	global_store_dwordx2 v[8:9], v[6:7], off
	s_waitcnt_vscnt null, 0x0
	global_atomic_cmpswap_x2 v[11:12], v10, v[4:7], s[6:7] offset:24 glc
	s_waitcnt vmcnt(0)
	v_cmp_eq_u64_e32 vcc_lo, v[11:12], v[6:7]
	v_mov_b32_e32 v6, v11
	v_mov_b32_e32 v7, v12
	s_or_b32 s4, vcc_lo, s4
	s_andn2_b32 exec_lo, exec_lo, s4
	s_cbranch_execnz .LBB0_131
.LBB0_132:
	s_or_b32 exec_lo, exec_lo, s5
.LBB0_133:
	v_cmp_ne_u64_e32 vcc_lo, 0, v[0:1]
	v_mov_b32_e32 v26, 0
	v_mov_b32_e32 v27, 0
	s_and_saveexec_b32 s5, vcc_lo
	s_cbranch_execnz .LBB0_158
; %bb.134:
	s_or_b32 exec_lo, exec_lo, s5
	s_and_saveexec_b32 s4, vcc_lo
	s_xor_b32 s12, exec_lo, s4
	s_cbranch_execnz .LBB0_161
.LBB0_135:
	s_andn2_saveexec_b32 s5, s12
	s_cbranch_execz .LBB0_251
.LBB0_136:
	v_readfirstlane_b32 s4, v33
	v_mov_b32_e32 v0, 0
	v_mov_b32_e32 v1, 0
	v_cmp_eq_u32_e64 s4, s4, v33
	s_and_saveexec_b32 s8, s4
	s_cbranch_execz .LBB0_142
; %bb.137:
	s_waitcnt vmcnt(0)
	v_mov_b32_e32 v4, 0
	s_mov_b32 s9, exec_lo
	global_load_dwordx2 v[7:8], v4, s[6:7] offset:24 glc dlc
	s_waitcnt vmcnt(0)
	buffer_gl1_inv
	buffer_gl0_inv
	s_clause 0x1
	global_load_dwordx2 v[0:1], v4, s[6:7] offset:40
	global_load_dwordx2 v[5:6], v4, s[6:7]
	s_waitcnt vmcnt(1)
	v_and_b32_e32 v1, v1, v8
	v_and_b32_e32 v0, v0, v7
	v_mul_lo_u32 v1, v1, 24
	v_mul_hi_u32 v9, v0, 24
	v_mul_lo_u32 v0, v0, 24
	v_add_nc_u32_e32 v1, v9, v1
	s_waitcnt vmcnt(0)
	v_add_co_u32 v0, vcc_lo, v5, v0
	v_add_co_ci_u32_e32 v1, vcc_lo, v6, v1, vcc_lo
	global_load_dwordx2 v[5:6], v[0:1], off glc dlc
	s_waitcnt vmcnt(0)
	global_atomic_cmpswap_x2 v[0:1], v4, v[5:8], s[6:7] offset:24 glc
	s_waitcnt vmcnt(0)
	buffer_gl1_inv
	buffer_gl0_inv
	v_cmpx_ne_u64_e64 v[0:1], v[7:8]
	s_cbranch_execz .LBB0_141
; %bb.138:
	s_mov_b32 s10, 0
	.p2align	6
.LBB0_139:                              ; =>This Inner Loop Header: Depth=1
	s_sleep 1
	s_clause 0x1
	global_load_dwordx2 v[5:6], v4, s[6:7] offset:40
	global_load_dwordx2 v[9:10], v4, s[6:7]
	v_mov_b32_e32 v8, v1
	v_mov_b32_e32 v7, v0
	s_waitcnt vmcnt(1)
	v_and_b32_e32 v0, v5, v7
	v_and_b32_e32 v5, v6, v8
	s_waitcnt vmcnt(0)
	v_mad_u64_u32 v[0:1], null, v0, 24, v[9:10]
	v_mad_u64_u32 v[5:6], null, v5, 24, v[1:2]
	v_mov_b32_e32 v1, v5
	global_load_dwordx2 v[5:6], v[0:1], off glc dlc
	s_waitcnt vmcnt(0)
	global_atomic_cmpswap_x2 v[0:1], v4, v[5:8], s[6:7] offset:24 glc
	s_waitcnt vmcnt(0)
	buffer_gl1_inv
	buffer_gl0_inv
	v_cmp_eq_u64_e32 vcc_lo, v[0:1], v[7:8]
	s_or_b32 s10, vcc_lo, s10
	s_andn2_b32 exec_lo, exec_lo, s10
	s_cbranch_execnz .LBB0_139
; %bb.140:
	s_or_b32 exec_lo, exec_lo, s10
.LBB0_141:
	s_or_b32 exec_lo, exec_lo, s9
.LBB0_142:
	s_or_b32 exec_lo, exec_lo, s8
	s_waitcnt vmcnt(0)
	v_mov_b32_e32 v4, 0
	v_readfirstlane_b32 s8, v0
	v_readfirstlane_b32 s9, v1
	s_mov_b32 s12, exec_lo
	s_clause 0x1
	global_load_dwordx2 v[10:11], v4, s[6:7] offset:40
	global_load_dwordx4 v[6:9], v4, s[6:7]
	s_waitcnt vmcnt(1)
	v_readfirstlane_b32 s10, v10
	v_readfirstlane_b32 s11, v11
	s_and_b64 s[10:11], s[8:9], s[10:11]
	s_mul_i32 s13, s11, 24
	s_mul_hi_u32 s14, s10, 24
	s_mul_i32 s15, s10, 24
	s_add_i32 s14, s14, s13
	s_waitcnt vmcnt(0)
	v_add_co_u32 v10, vcc_lo, v6, s15
	v_add_co_ci_u32_e32 v11, vcc_lo, s14, v7, vcc_lo
	s_and_saveexec_b32 s13, s4
	s_cbranch_execz .LBB0_144
; %bb.143:
	v_mov_b32_e32 v12, s12
	v_mov_b32_e32 v13, v4
	;; [unrolled: 1-line block ×4, first 2 shown]
	global_store_dwordx4 v[10:11], v[12:15], off offset:8
.LBB0_144:
	s_or_b32 exec_lo, exec_lo, s13
	s_lshl_b64 s[10:11], s[10:11], 12
	s_mov_b32 s12, 0
	v_add_co_u32 v0, vcc_lo, v8, s10
	v_add_co_ci_u32_e32 v1, vcc_lo, s11, v9, vcc_lo
	s_mov_b32 s13, s12
	s_mov_b32 s14, s12
	;; [unrolled: 1-line block ×3, first 2 shown]
	v_and_or_b32 v2, 0xffffff1d, v2, 34
	v_mov_b32_e32 v5, v4
	v_readfirstlane_b32 s10, v0
	v_readfirstlane_b32 s11, v1
	v_mov_b32_e32 v12, s12
	v_mov_b32_e32 v13, s13
	v_mov_b32_e32 v14, s14
	v_mov_b32_e32 v15, s15
	global_store_dwordx4 v32, v[2:5], s[10:11]
	global_store_dwordx4 v32, v[12:15], s[10:11] offset:16
	global_store_dwordx4 v32, v[12:15], s[10:11] offset:32
	;; [unrolled: 1-line block ×3, first 2 shown]
	s_and_saveexec_b32 s10, s4
	s_cbranch_execz .LBB0_152
; %bb.145:
	v_mov_b32_e32 v8, 0
	v_mov_b32_e32 v12, s8
	;; [unrolled: 1-line block ×3, first 2 shown]
	s_clause 0x1
	global_load_dwordx2 v[14:15], v8, s[6:7] offset:32 glc dlc
	global_load_dwordx2 v[0:1], v8, s[6:7] offset:40
	s_waitcnt vmcnt(0)
	v_readfirstlane_b32 s12, v0
	v_readfirstlane_b32 s13, v1
	s_and_b64 s[12:13], s[12:13], s[8:9]
	s_mul_i32 s11, s13, 24
	s_mul_hi_u32 s13, s12, 24
	s_mul_i32 s12, s12, 24
	s_add_i32 s13, s13, s11
	v_add_co_u32 v4, vcc_lo, v6, s12
	v_add_co_ci_u32_e32 v5, vcc_lo, s13, v7, vcc_lo
	s_mov_b32 s11, exec_lo
	global_store_dwordx2 v[4:5], v[14:15], off
	s_waitcnt_vscnt null, 0x0
	global_atomic_cmpswap_x2 v[2:3], v8, v[12:15], s[6:7] offset:32 glc
	s_waitcnt vmcnt(0)
	v_cmpx_ne_u64_e64 v[2:3], v[14:15]
	s_cbranch_execz .LBB0_148
; %bb.146:
	s_mov_b32 s12, 0
.LBB0_147:                              ; =>This Inner Loop Header: Depth=1
	v_mov_b32_e32 v0, s8
	v_mov_b32_e32 v1, s9
	s_sleep 1
	global_store_dwordx2 v[4:5], v[2:3], off
	s_waitcnt_vscnt null, 0x0
	global_atomic_cmpswap_x2 v[0:1], v8, v[0:3], s[6:7] offset:32 glc
	s_waitcnt vmcnt(0)
	v_cmp_eq_u64_e32 vcc_lo, v[0:1], v[2:3]
	v_mov_b32_e32 v3, v1
	v_mov_b32_e32 v2, v0
	s_or_b32 s12, vcc_lo, s12
	s_andn2_b32 exec_lo, exec_lo, s12
	s_cbranch_execnz .LBB0_147
.LBB0_148:
	s_or_b32 exec_lo, exec_lo, s11
	v_mov_b32_e32 v3, 0
	s_mov_b32 s12, exec_lo
	s_mov_b32 s11, exec_lo
	v_mbcnt_lo_u32_b32 v2, s12, 0
	global_load_dwordx2 v[0:1], v3, s[6:7] offset:16
	v_cmpx_eq_u32_e32 0, v2
	s_cbranch_execz .LBB0_150
; %bb.149:
	s_bcnt1_i32_b32 s12, s12
	v_mov_b32_e32 v2, s12
	s_waitcnt vmcnt(0)
	global_atomic_add_x2 v[0:1], v[2:3], off offset:8
.LBB0_150:
	s_or_b32 exec_lo, exec_lo, s11
	s_waitcnt vmcnt(0)
	global_load_dwordx2 v[2:3], v[0:1], off offset:16
	s_waitcnt vmcnt(0)
	v_cmp_eq_u64_e32 vcc_lo, 0, v[2:3]
	s_cbranch_vccnz .LBB0_152
; %bb.151:
	global_load_dword v0, v[0:1], off offset:24
	v_mov_b32_e32 v1, 0
	s_waitcnt vmcnt(0)
	v_and_b32_e32 v4, 0x7fffff, v0
	s_waitcnt_vscnt null, 0x0
	global_store_dwordx2 v[2:3], v[0:1], off
	v_readfirstlane_b32 m0, v4
	s_sendmsg sendmsg(MSG_INTERRUPT)
.LBB0_152:
	s_or_b32 exec_lo, exec_lo, s10
	s_branch .LBB0_156
	.p2align	6
.LBB0_153:                              ;   in Loop: Header=BB0_156 Depth=1
	s_or_b32 exec_lo, exec_lo, s10
	v_readfirstlane_b32 s10, v0
	s_cmp_eq_u32 s10, 0
	s_cbranch_scc1 .LBB0_155
; %bb.154:                              ;   in Loop: Header=BB0_156 Depth=1
	s_sleep 1
	s_cbranch_execnz .LBB0_156
	s_branch .LBB0_245
	.p2align	6
.LBB0_155:
	s_branch .LBB0_245
.LBB0_156:                              ; =>This Inner Loop Header: Depth=1
	v_mov_b32_e32 v0, 1
	s_and_saveexec_b32 s10, s4
	s_cbranch_execz .LBB0_153
; %bb.157:                              ;   in Loop: Header=BB0_156 Depth=1
	global_load_dword v0, v[10:11], off offset:20 glc dlc
	s_waitcnt vmcnt(0)
	buffer_gl1_inv
	buffer_gl0_inv
	v_and_b32_e32 v0, 1, v0
	s_branch .LBB0_153
.LBB0_158:
	s_waitcnt vmcnt(0)
	v_add_co_u32 v4, s4, v0, -1
	v_add_co_ci_u32_e64 v5, s4, -1, v1, s4
	s_mov_b32 s8, 0
.LBB0_159:                              ; =>This Inner Loop Header: Depth=1
	flat_load_ubyte v8, v[4:5] offset:1
	v_add_co_u32 v6, s4, v4, 1
	v_add_co_ci_u32_e64 v7, s4, 0, v5, s4
	v_mov_b32_e32 v4, v6
	v_mov_b32_e32 v5, v7
	s_waitcnt vmcnt(0) lgkmcnt(0)
	v_cmp_eq_u16_e64 s4, 0, v8
	s_or_b32 s8, s4, s8
	s_andn2_b32 exec_lo, exec_lo, s8
	s_cbranch_execnz .LBB0_159
; %bb.160:
	s_or_b32 exec_lo, exec_lo, s8
	v_sub_co_u32 v4, s4, v6, v0
	v_sub_co_ci_u32_e64 v5, s4, v7, v1, s4
	v_add_co_u32 v26, s4, v4, 1
	v_add_co_ci_u32_e64 v27, s4, 0, v5, s4
	s_or_b32 exec_lo, exec_lo, s5
	s_and_saveexec_b32 s4, vcc_lo
	s_xor_b32 s12, exec_lo, s4
	s_cbranch_execz .LBB0_135
.LBB0_161:
	s_waitcnt vmcnt(0)
	v_and_b32_e32 v2, -3, v2
	v_mov_b32_e32 v7, 0
	v_mov_b32_e32 v8, 2
	;; [unrolled: 1-line block ×3, first 2 shown]
	s_mov_b32 s14, 0
	s_mov_b32 s13, 0
	s_branch .LBB0_163
.LBB0_162:                              ;   in Loop: Header=BB0_163 Depth=1
	s_or_b32 exec_lo, exec_lo, s5
	v_sub_co_u32 v26, vcc_lo, v26, v28
	v_sub_co_ci_u32_e32 v27, vcc_lo, v27, v29, vcc_lo
	v_add_co_u32 v0, s4, v0, v28
	v_add_co_ci_u32_e64 v1, s4, v1, v29, s4
	v_cmp_eq_u64_e32 vcc_lo, 0, v[26:27]
	s_or_b32 s13, vcc_lo, s13
	s_andn2_b32 exec_lo, exec_lo, s13
	s_cbranch_execz .LBB0_250
.LBB0_163:                              ; =>This Loop Header: Depth=1
                                        ;     Child Loop BB0_166 Depth 2
                                        ;     Child Loop BB0_174 Depth 2
	;; [unrolled: 1-line block ×11, first 2 shown]
	v_cmp_gt_u64_e32 vcc_lo, 56, v[26:27]
	s_mov_b32 s5, exec_lo
                                        ; implicit-def: $sgpr8
	v_cndmask_b32_e32 v29, 0, v27, vcc_lo
	v_cndmask_b32_e32 v28, 56, v26, vcc_lo
	v_cmpx_gt_u64_e32 8, v[26:27]
	s_xor_b32 s5, exec_lo, s5
	s_cbranch_execz .LBB0_169
; %bb.164:                              ;   in Loop: Header=BB0_163 Depth=1
	s_waitcnt vmcnt(0)
	v_mov_b32_e32 v4, 0
	v_mov_b32_e32 v5, 0
	s_mov_b64 s[8:9], 0
	s_mov_b32 s10, exec_lo
	v_cmpx_ne_u64_e32 0, v[26:27]
	s_cbranch_execz .LBB0_168
; %bb.165:                              ;   in Loop: Header=BB0_163 Depth=1
	v_lshlrev_b64 v[10:11], 3, v[28:29]
	v_mov_b32_e32 v4, 0
	v_mov_b32_e32 v12, v1
	;; [unrolled: 1-line block ×4, first 2 shown]
	s_mov_b32 s11, 0
	.p2align	6
.LBB0_166:                              ;   Parent Loop BB0_163 Depth=1
                                        ; =>  This Inner Loop Header: Depth=2
	flat_load_ubyte v6, v[11:12]
	v_mov_b32_e32 v14, s14
	v_add_co_u32 v11, vcc_lo, v11, 1
	v_add_co_ci_u32_e32 v12, vcc_lo, 0, v12, vcc_lo
	s_waitcnt vmcnt(0) lgkmcnt(0)
	v_and_b32_e32 v13, 0xffff, v6
	v_lshlrev_b64 v[13:14], s8, v[13:14]
	s_add_u32 s8, s8, 8
	s_addc_u32 s9, s9, 0
	v_cmp_eq_u32_e64 s4, s8, v10
	v_or_b32_e32 v5, v14, v5
	v_or_b32_e32 v4, v13, v4
	s_or_b32 s11, s4, s11
	s_andn2_b32 exec_lo, exec_lo, s11
	s_cbranch_execnz .LBB0_166
; %bb.167:                              ;   in Loop: Header=BB0_163 Depth=1
	s_or_b32 exec_lo, exec_lo, s11
.LBB0_168:                              ;   in Loop: Header=BB0_163 Depth=1
	s_or_b32 exec_lo, exec_lo, s10
	s_mov_b32 s8, 0
.LBB0_169:                              ;   in Loop: Header=BB0_163 Depth=1
	s_or_saveexec_b32 s4, s5
	v_mov_b32_e32 v23, v1
	v_mov_b32_e32 v6, s8
	;; [unrolled: 1-line block ×3, first 2 shown]
	s_xor_b32 exec_lo, exec_lo, s4
	s_cbranch_execz .LBB0_171
; %bb.170:                              ;   in Loop: Header=BB0_163 Depth=1
	s_waitcnt vmcnt(0)
	flat_load_dwordx2 v[4:5], v[0:1]
	v_add_co_u32 v22, vcc_lo, v0, 8
	v_add_co_ci_u32_e32 v23, vcc_lo, 0, v1, vcc_lo
	s_waitcnt vmcnt(0) lgkmcnt(0)
	v_and_b32_e32 v6, 0xff, v5
	v_and_b32_e32 v10, 0xff00, v5
	;; [unrolled: 1-line block ×4, first 2 shown]
	v_or3_b32 v4, v4, 0, 0
	v_or_b32_e32 v10, v6, v10
	v_add_nc_u32_e32 v6, -8, v28
	v_or3_b32 v5, v10, v11, v5
.LBB0_171:                              ;   in Loop: Header=BB0_163 Depth=1
	s_or_b32 exec_lo, exec_lo, s4
                                        ; implicit-def: $vgpr10_vgpr11
                                        ; implicit-def: $sgpr5
	s_mov_b32 s4, exec_lo
	v_cmpx_gt_u32_e32 8, v6
	s_xor_b32 s10, exec_lo, s4
	s_cbranch_execz .LBB0_177
; %bb.172:                              ;   in Loop: Header=BB0_163 Depth=1
	v_mov_b32_e32 v10, 0
	v_mov_b32_e32 v11, 0
	s_mov_b32 s11, exec_lo
	v_cmpx_ne_u32_e32 0, v6
	s_cbranch_execz .LBB0_176
; %bb.173:                              ;   in Loop: Header=BB0_163 Depth=1
	v_mov_b32_e32 v10, 0
	v_mov_b32_e32 v11, 0
	s_mov_b64 s[4:5], 0
	s_mov_b32 s15, 0
	s_mov_b64 s[8:9], 0
	.p2align	6
.LBB0_174:                              ;   Parent Loop BB0_163 Depth=1
                                        ; =>  This Inner Loop Header: Depth=2
	v_add_co_u32 v12, vcc_lo, v22, s8
	v_add_co_ci_u32_e32 v13, vcc_lo, s9, v23, vcc_lo
	s_add_u32 s8, s8, 1
	s_addc_u32 s9, s9, 0
	v_cmp_eq_u32_e32 vcc_lo, s8, v6
	flat_load_ubyte v12, v[12:13]
	v_mov_b32_e32 v13, s14
	s_waitcnt vmcnt(0) lgkmcnt(0)
	v_and_b32_e32 v12, 0xffff, v12
	v_lshlrev_b64 v[12:13], s4, v[12:13]
	s_add_u32 s4, s4, 8
	s_addc_u32 s5, s5, 0
	s_or_b32 s15, vcc_lo, s15
	v_or_b32_e32 v11, v13, v11
	v_or_b32_e32 v10, v12, v10
	s_andn2_b32 exec_lo, exec_lo, s15
	s_cbranch_execnz .LBB0_174
; %bb.175:                              ;   in Loop: Header=BB0_163 Depth=1
	s_or_b32 exec_lo, exec_lo, s15
.LBB0_176:                              ;   in Loop: Header=BB0_163 Depth=1
	s_or_b32 exec_lo, exec_lo, s11
	s_mov_b32 s5, 0
                                        ; implicit-def: $vgpr6
.LBB0_177:                              ;   in Loop: Header=BB0_163 Depth=1
	s_or_saveexec_b32 s4, s10
	v_mov_b32_e32 v14, s5
	s_xor_b32 exec_lo, exec_lo, s4
	s_cbranch_execz .LBB0_179
; %bb.178:                              ;   in Loop: Header=BB0_163 Depth=1
	flat_load_dwordx2 v[10:11], v[22:23]
	v_add_co_u32 v22, vcc_lo, v22, 8
	v_add_nc_u32_e32 v14, -8, v6
	v_add_co_ci_u32_e32 v23, vcc_lo, 0, v23, vcc_lo
	s_waitcnt vmcnt(0) lgkmcnt(0)
	v_and_b32_e32 v12, 0xff, v11
	v_and_b32_e32 v13, 0xff00, v11
	;; [unrolled: 1-line block ×4, first 2 shown]
	v_or3_b32 v10, v10, 0, 0
	v_or_b32_e32 v12, v12, v13
	v_or3_b32 v11, v12, v15, v11
.LBB0_179:                              ;   in Loop: Header=BB0_163 Depth=1
	s_or_b32 exec_lo, exec_lo, s4
                                        ; implicit-def: $sgpr5
	s_mov_b32 s4, exec_lo
	v_cmpx_gt_u32_e32 8, v14
	s_xor_b32 s10, exec_lo, s4
	s_cbranch_execz .LBB0_185
; %bb.180:                              ;   in Loop: Header=BB0_163 Depth=1
	v_mov_b32_e32 v12, 0
	v_mov_b32_e32 v13, 0
	s_mov_b32 s11, exec_lo
	v_cmpx_ne_u32_e32 0, v14
	s_cbranch_execz .LBB0_184
; %bb.181:                              ;   in Loop: Header=BB0_163 Depth=1
	v_mov_b32_e32 v12, 0
	v_mov_b32_e32 v13, 0
	s_mov_b64 s[4:5], 0
	s_mov_b32 s15, 0
	s_mov_b64 s[8:9], 0
	.p2align	6
.LBB0_182:                              ;   Parent Loop BB0_163 Depth=1
                                        ; =>  This Inner Loop Header: Depth=2
	v_add_co_u32 v15, vcc_lo, v22, s8
	v_add_co_ci_u32_e32 v16, vcc_lo, s9, v23, vcc_lo
	s_add_u32 s8, s8, 1
	s_addc_u32 s9, s9, 0
	v_cmp_eq_u32_e32 vcc_lo, s8, v14
	flat_load_ubyte v6, v[15:16]
	v_mov_b32_e32 v16, s14
	s_waitcnt vmcnt(0) lgkmcnt(0)
	v_and_b32_e32 v15, 0xffff, v6
	v_lshlrev_b64 v[15:16], s4, v[15:16]
	s_add_u32 s4, s4, 8
	s_addc_u32 s5, s5, 0
	s_or_b32 s15, vcc_lo, s15
	v_or_b32_e32 v13, v16, v13
	v_or_b32_e32 v12, v15, v12
	s_andn2_b32 exec_lo, exec_lo, s15
	s_cbranch_execnz .LBB0_182
; %bb.183:                              ;   in Loop: Header=BB0_163 Depth=1
	s_or_b32 exec_lo, exec_lo, s15
.LBB0_184:                              ;   in Loop: Header=BB0_163 Depth=1
	s_or_b32 exec_lo, exec_lo, s11
	s_mov_b32 s5, 0
                                        ; implicit-def: $vgpr14
.LBB0_185:                              ;   in Loop: Header=BB0_163 Depth=1
	s_or_saveexec_b32 s4, s10
	v_mov_b32_e32 v6, s5
	s_xor_b32 exec_lo, exec_lo, s4
	s_cbranch_execz .LBB0_187
; %bb.186:                              ;   in Loop: Header=BB0_163 Depth=1
	flat_load_dwordx2 v[12:13], v[22:23]
	v_add_co_u32 v22, vcc_lo, v22, 8
	v_add_co_ci_u32_e32 v23, vcc_lo, 0, v23, vcc_lo
	s_waitcnt vmcnt(0) lgkmcnt(0)
	v_and_b32_e32 v6, 0xff, v13
	v_and_b32_e32 v15, 0xff00, v13
	;; [unrolled: 1-line block ×4, first 2 shown]
	v_or3_b32 v12, v12, 0, 0
	v_or_b32_e32 v15, v6, v15
	v_add_nc_u32_e32 v6, -8, v14
	v_or3_b32 v13, v15, v16, v13
.LBB0_187:                              ;   in Loop: Header=BB0_163 Depth=1
	s_or_b32 exec_lo, exec_lo, s4
                                        ; implicit-def: $vgpr14_vgpr15
                                        ; implicit-def: $sgpr5
	s_mov_b32 s4, exec_lo
	v_cmpx_gt_u32_e32 8, v6
	s_xor_b32 s10, exec_lo, s4
	s_cbranch_execz .LBB0_193
; %bb.188:                              ;   in Loop: Header=BB0_163 Depth=1
	v_mov_b32_e32 v14, 0
	v_mov_b32_e32 v15, 0
	s_mov_b32 s11, exec_lo
	v_cmpx_ne_u32_e32 0, v6
	s_cbranch_execz .LBB0_192
; %bb.189:                              ;   in Loop: Header=BB0_163 Depth=1
	v_mov_b32_e32 v14, 0
	v_mov_b32_e32 v15, 0
	s_mov_b64 s[4:5], 0
	s_mov_b32 s15, 0
	s_mov_b64 s[8:9], 0
	.p2align	6
.LBB0_190:                              ;   Parent Loop BB0_163 Depth=1
                                        ; =>  This Inner Loop Header: Depth=2
	v_add_co_u32 v16, vcc_lo, v22, s8
	v_add_co_ci_u32_e32 v17, vcc_lo, s9, v23, vcc_lo
	s_add_u32 s8, s8, 1
	s_addc_u32 s9, s9, 0
	v_cmp_eq_u32_e32 vcc_lo, s8, v6
	flat_load_ubyte v16, v[16:17]
	v_mov_b32_e32 v17, s14
	s_waitcnt vmcnt(0) lgkmcnt(0)
	v_and_b32_e32 v16, 0xffff, v16
	v_lshlrev_b64 v[16:17], s4, v[16:17]
	s_add_u32 s4, s4, 8
	s_addc_u32 s5, s5, 0
	s_or_b32 s15, vcc_lo, s15
	v_or_b32_e32 v15, v17, v15
	v_or_b32_e32 v14, v16, v14
	s_andn2_b32 exec_lo, exec_lo, s15
	s_cbranch_execnz .LBB0_190
; %bb.191:                              ;   in Loop: Header=BB0_163 Depth=1
	s_or_b32 exec_lo, exec_lo, s15
.LBB0_192:                              ;   in Loop: Header=BB0_163 Depth=1
	s_or_b32 exec_lo, exec_lo, s11
	s_mov_b32 s5, 0
                                        ; implicit-def: $vgpr6
.LBB0_193:                              ;   in Loop: Header=BB0_163 Depth=1
	s_or_saveexec_b32 s4, s10
	v_mov_b32_e32 v18, s5
	s_xor_b32 exec_lo, exec_lo, s4
	s_cbranch_execz .LBB0_195
; %bb.194:                              ;   in Loop: Header=BB0_163 Depth=1
	flat_load_dwordx2 v[14:15], v[22:23]
	v_add_co_u32 v22, vcc_lo, v22, 8
	v_add_nc_u32_e32 v18, -8, v6
	v_add_co_ci_u32_e32 v23, vcc_lo, 0, v23, vcc_lo
	s_waitcnt vmcnt(0) lgkmcnt(0)
	v_and_b32_e32 v16, 0xff, v15
	v_and_b32_e32 v17, 0xff00, v15
	;; [unrolled: 1-line block ×4, first 2 shown]
	v_or3_b32 v14, v14, 0, 0
	v_or_b32_e32 v16, v16, v17
	v_or3_b32 v15, v16, v19, v15
.LBB0_195:                              ;   in Loop: Header=BB0_163 Depth=1
	s_or_b32 exec_lo, exec_lo, s4
                                        ; implicit-def: $sgpr5
	s_mov_b32 s4, exec_lo
	v_cmpx_gt_u32_e32 8, v18
	s_xor_b32 s10, exec_lo, s4
	s_cbranch_execz .LBB0_201
; %bb.196:                              ;   in Loop: Header=BB0_163 Depth=1
	v_mov_b32_e32 v16, 0
	v_mov_b32_e32 v17, 0
	s_mov_b32 s11, exec_lo
	v_cmpx_ne_u32_e32 0, v18
	s_cbranch_execz .LBB0_200
; %bb.197:                              ;   in Loop: Header=BB0_163 Depth=1
	v_mov_b32_e32 v16, 0
	v_mov_b32_e32 v17, 0
	s_mov_b64 s[4:5], 0
	s_mov_b32 s15, 0
	s_mov_b64 s[8:9], 0
	.p2align	6
.LBB0_198:                              ;   Parent Loop BB0_163 Depth=1
                                        ; =>  This Inner Loop Header: Depth=2
	v_add_co_u32 v19, vcc_lo, v22, s8
	v_add_co_ci_u32_e32 v20, vcc_lo, s9, v23, vcc_lo
	s_add_u32 s8, s8, 1
	s_addc_u32 s9, s9, 0
	v_cmp_eq_u32_e32 vcc_lo, s8, v18
	flat_load_ubyte v6, v[19:20]
	v_mov_b32_e32 v20, s14
	s_waitcnt vmcnt(0) lgkmcnt(0)
	v_and_b32_e32 v19, 0xffff, v6
	v_lshlrev_b64 v[19:20], s4, v[19:20]
	s_add_u32 s4, s4, 8
	s_addc_u32 s5, s5, 0
	s_or_b32 s15, vcc_lo, s15
	v_or_b32_e32 v17, v20, v17
	v_or_b32_e32 v16, v19, v16
	s_andn2_b32 exec_lo, exec_lo, s15
	s_cbranch_execnz .LBB0_198
; %bb.199:                              ;   in Loop: Header=BB0_163 Depth=1
	s_or_b32 exec_lo, exec_lo, s15
.LBB0_200:                              ;   in Loop: Header=BB0_163 Depth=1
	s_or_b32 exec_lo, exec_lo, s11
	s_mov_b32 s5, 0
                                        ; implicit-def: $vgpr18
.LBB0_201:                              ;   in Loop: Header=BB0_163 Depth=1
	s_or_saveexec_b32 s4, s10
	v_mov_b32_e32 v6, s5
	s_xor_b32 exec_lo, exec_lo, s4
	s_cbranch_execz .LBB0_203
; %bb.202:                              ;   in Loop: Header=BB0_163 Depth=1
	flat_load_dwordx2 v[16:17], v[22:23]
	v_add_co_u32 v22, vcc_lo, v22, 8
	v_add_co_ci_u32_e32 v23, vcc_lo, 0, v23, vcc_lo
	s_waitcnt vmcnt(0) lgkmcnt(0)
	v_and_b32_e32 v6, 0xff, v17
	v_and_b32_e32 v19, 0xff00, v17
	;; [unrolled: 1-line block ×4, first 2 shown]
	v_or3_b32 v16, v16, 0, 0
	v_or_b32_e32 v19, v6, v19
	v_add_nc_u32_e32 v6, -8, v18
	v_or3_b32 v17, v19, v20, v17
.LBB0_203:                              ;   in Loop: Header=BB0_163 Depth=1
	s_or_b32 exec_lo, exec_lo, s4
                                        ; implicit-def: $vgpr18_vgpr19
                                        ; implicit-def: $sgpr5
	s_mov_b32 s4, exec_lo
	v_cmpx_gt_u32_e32 8, v6
	s_xor_b32 s10, exec_lo, s4
	s_cbranch_execz .LBB0_209
; %bb.204:                              ;   in Loop: Header=BB0_163 Depth=1
	v_mov_b32_e32 v18, 0
	v_mov_b32_e32 v19, 0
	s_mov_b32 s11, exec_lo
	v_cmpx_ne_u32_e32 0, v6
	s_cbranch_execz .LBB0_208
; %bb.205:                              ;   in Loop: Header=BB0_163 Depth=1
	v_mov_b32_e32 v18, 0
	v_mov_b32_e32 v19, 0
	s_mov_b64 s[4:5], 0
	s_mov_b32 s15, 0
	s_mov_b64 s[8:9], 0
	.p2align	6
.LBB0_206:                              ;   Parent Loop BB0_163 Depth=1
                                        ; =>  This Inner Loop Header: Depth=2
	v_add_co_u32 v20, vcc_lo, v22, s8
	v_add_co_ci_u32_e32 v21, vcc_lo, s9, v23, vcc_lo
	s_add_u32 s8, s8, 1
	s_addc_u32 s9, s9, 0
	v_cmp_eq_u32_e32 vcc_lo, s8, v6
	flat_load_ubyte v20, v[20:21]
	v_mov_b32_e32 v21, s14
	s_waitcnt vmcnt(0) lgkmcnt(0)
	v_and_b32_e32 v20, 0xffff, v20
	v_lshlrev_b64 v[20:21], s4, v[20:21]
	s_add_u32 s4, s4, 8
	s_addc_u32 s5, s5, 0
	s_or_b32 s15, vcc_lo, s15
	v_or_b32_e32 v19, v21, v19
	v_or_b32_e32 v18, v20, v18
	s_andn2_b32 exec_lo, exec_lo, s15
	s_cbranch_execnz .LBB0_206
; %bb.207:                              ;   in Loop: Header=BB0_163 Depth=1
	s_or_b32 exec_lo, exec_lo, s15
.LBB0_208:                              ;   in Loop: Header=BB0_163 Depth=1
	s_or_b32 exec_lo, exec_lo, s11
	s_mov_b32 s5, 0
                                        ; implicit-def: $vgpr6
.LBB0_209:                              ;   in Loop: Header=BB0_163 Depth=1
	s_or_saveexec_b32 s4, s10
	v_mov_b32_e32 v24, s5
	s_xor_b32 exec_lo, exec_lo, s4
	s_cbranch_execz .LBB0_211
; %bb.210:                              ;   in Loop: Header=BB0_163 Depth=1
	flat_load_dwordx2 v[18:19], v[22:23]
	v_add_co_u32 v22, vcc_lo, v22, 8
	v_add_nc_u32_e32 v24, -8, v6
	v_add_co_ci_u32_e32 v23, vcc_lo, 0, v23, vcc_lo
	s_waitcnt vmcnt(0) lgkmcnt(0)
	v_and_b32_e32 v20, 0xff, v19
	v_and_b32_e32 v21, 0xff00, v19
	;; [unrolled: 1-line block ×4, first 2 shown]
	v_or3_b32 v18, v18, 0, 0
	v_or_b32_e32 v20, v20, v21
	v_or3_b32 v19, v20, v25, v19
.LBB0_211:                              ;   in Loop: Header=BB0_163 Depth=1
	s_or_b32 exec_lo, exec_lo, s4
	s_mov_b32 s4, exec_lo
	v_cmpx_gt_u32_e32 8, v24
	s_xor_b32 s8, exec_lo, s4
	s_cbranch_execz .LBB0_217
; %bb.212:                              ;   in Loop: Header=BB0_163 Depth=1
	v_mov_b32_e32 v20, 0
	v_mov_b32_e32 v21, 0
	s_mov_b32 s9, exec_lo
	v_cmpx_ne_u32_e32 0, v24
	s_cbranch_execz .LBB0_216
; %bb.213:                              ;   in Loop: Header=BB0_163 Depth=1
	v_mov_b32_e32 v20, 0
	v_mov_b32_e32 v21, 0
	s_mov_b64 s[4:5], 0
	s_mov_b32 s10, 0
	.p2align	6
.LBB0_214:                              ;   Parent Loop BB0_163 Depth=1
                                        ; =>  This Inner Loop Header: Depth=2
	flat_load_ubyte v6, v[22:23]
	v_mov_b32_e32 v31, s14
	v_add_nc_u32_e32 v24, -1, v24
	v_add_co_u32 v22, vcc_lo, v22, 1
	v_add_co_ci_u32_e32 v23, vcc_lo, 0, v23, vcc_lo
	v_cmp_eq_u32_e32 vcc_lo, 0, v24
	s_waitcnt vmcnt(0) lgkmcnt(0)
	v_and_b32_e32 v30, 0xffff, v6
	v_lshlrev_b64 v[30:31], s4, v[30:31]
	s_add_u32 s4, s4, 8
	s_addc_u32 s5, s5, 0
	s_or_b32 s10, vcc_lo, s10
	v_or_b32_e32 v21, v31, v21
	v_or_b32_e32 v20, v30, v20
	s_andn2_b32 exec_lo, exec_lo, s10
	s_cbranch_execnz .LBB0_214
; %bb.215:                              ;   in Loop: Header=BB0_163 Depth=1
	s_or_b32 exec_lo, exec_lo, s10
.LBB0_216:                              ;   in Loop: Header=BB0_163 Depth=1
	s_or_b32 exec_lo, exec_lo, s9
                                        ; implicit-def: $vgpr22_vgpr23
.LBB0_217:                              ;   in Loop: Header=BB0_163 Depth=1
	s_andn2_saveexec_b32 s4, s8
	s_cbranch_execz .LBB0_219
; %bb.218:                              ;   in Loop: Header=BB0_163 Depth=1
	flat_load_dwordx2 v[20:21], v[22:23]
	s_waitcnt vmcnt(0) lgkmcnt(0)
	v_and_b32_e32 v6, 0xff, v21
	v_and_b32_e32 v22, 0xff00, v21
	;; [unrolled: 1-line block ×4, first 2 shown]
	v_or3_b32 v20, v20, 0, 0
	v_or_b32_e32 v6, v6, v22
	v_or3_b32 v21, v6, v23, v21
.LBB0_219:                              ;   in Loop: Header=BB0_163 Depth=1
	s_or_b32 exec_lo, exec_lo, s4
	v_readfirstlane_b32 s4, v33
	v_mov_b32_e32 v30, 0
	v_mov_b32_e32 v31, 0
	v_cmp_eq_u32_e64 s4, s4, v33
	s_and_saveexec_b32 s5, s4
	s_cbranch_execz .LBB0_225
; %bb.220:                              ;   in Loop: Header=BB0_163 Depth=1
	global_load_dwordx2 v[24:25], v7, s[6:7] offset:24 glc dlc
	s_waitcnt vmcnt(0)
	buffer_gl1_inv
	buffer_gl0_inv
	s_clause 0x1
	global_load_dwordx2 v[22:23], v7, s[6:7] offset:40
	global_load_dwordx2 v[30:31], v7, s[6:7]
	s_mov_b32 s8, exec_lo
	s_waitcnt vmcnt(1)
	v_and_b32_e32 v6, v23, v25
	v_and_b32_e32 v22, v22, v24
	v_mul_lo_u32 v6, v6, 24
	v_mul_hi_u32 v23, v22, 24
	v_mul_lo_u32 v22, v22, 24
	v_add_nc_u32_e32 v6, v23, v6
	s_waitcnt vmcnt(0)
	v_add_co_u32 v22, vcc_lo, v30, v22
	v_add_co_ci_u32_e32 v23, vcc_lo, v31, v6, vcc_lo
	global_load_dwordx2 v[22:23], v[22:23], off glc dlc
	s_waitcnt vmcnt(0)
	global_atomic_cmpswap_x2 v[30:31], v7, v[22:25], s[6:7] offset:24 glc
	s_waitcnt vmcnt(0)
	buffer_gl1_inv
	buffer_gl0_inv
	v_cmpx_ne_u64_e64 v[30:31], v[24:25]
	s_cbranch_execz .LBB0_224
; %bb.221:                              ;   in Loop: Header=BB0_163 Depth=1
	s_mov_b32 s9, 0
	.p2align	6
.LBB0_222:                              ;   Parent Loop BB0_163 Depth=1
                                        ; =>  This Inner Loop Header: Depth=2
	s_sleep 1
	s_clause 0x1
	global_load_dwordx2 v[22:23], v7, s[6:7] offset:40
	global_load_dwordx2 v[34:35], v7, s[6:7]
	v_mov_b32_e32 v24, v30
	v_mov_b32_e32 v25, v31
	s_waitcnt vmcnt(1)
	v_and_b32_e32 v6, v22, v24
	v_and_b32_e32 v22, v23, v25
	s_waitcnt vmcnt(0)
	v_mad_u64_u32 v[30:31], null, v6, 24, v[34:35]
	v_mov_b32_e32 v6, v31
	v_mad_u64_u32 v[22:23], null, v22, 24, v[6:7]
	v_mov_b32_e32 v31, v22
	global_load_dwordx2 v[22:23], v[30:31], off glc dlc
	s_waitcnt vmcnt(0)
	global_atomic_cmpswap_x2 v[30:31], v7, v[22:25], s[6:7] offset:24 glc
	s_waitcnt vmcnt(0)
	buffer_gl1_inv
	buffer_gl0_inv
	v_cmp_eq_u64_e32 vcc_lo, v[30:31], v[24:25]
	s_or_b32 s9, vcc_lo, s9
	s_andn2_b32 exec_lo, exec_lo, s9
	s_cbranch_execnz .LBB0_222
; %bb.223:                              ;   in Loop: Header=BB0_163 Depth=1
	s_or_b32 exec_lo, exec_lo, s9
.LBB0_224:                              ;   in Loop: Header=BB0_163 Depth=1
	s_or_b32 exec_lo, exec_lo, s8
.LBB0_225:                              ;   in Loop: Header=BB0_163 Depth=1
	s_or_b32 exec_lo, exec_lo, s5
	s_clause 0x1
	global_load_dwordx2 v[34:35], v7, s[6:7] offset:40
	global_load_dwordx4 v[22:25], v7, s[6:7]
	v_readfirstlane_b32 s8, v30
	v_readfirstlane_b32 s9, v31
	s_mov_b32 s5, exec_lo
	s_waitcnt vmcnt(1)
	v_readfirstlane_b32 s10, v34
	v_readfirstlane_b32 s11, v35
	s_and_b64 s[10:11], s[8:9], s[10:11]
	s_mul_i32 s15, s11, 24
	s_mul_hi_u32 s16, s10, 24
	s_mul_i32 s17, s10, 24
	s_add_i32 s16, s16, s15
	s_waitcnt vmcnt(0)
	v_add_co_u32 v30, vcc_lo, v22, s17
	v_add_co_ci_u32_e32 v31, vcc_lo, s16, v23, vcc_lo
	s_and_saveexec_b32 s15, s4
	s_cbranch_execz .LBB0_227
; %bb.226:                              ;   in Loop: Header=BB0_163 Depth=1
	v_mov_b32_e32 v6, s5
	global_store_dwordx4 v[30:31], v[6:9], off offset:8
.LBB0_227:                              ;   in Loop: Header=BB0_163 Depth=1
	s_or_b32 exec_lo, exec_lo, s15
	s_lshl_b64 s[10:11], s[10:11], 12
	v_or_b32_e32 v6, 2, v2
	v_add_co_u32 v24, vcc_lo, v24, s10
	v_add_co_ci_u32_e32 v25, vcc_lo, s11, v25, vcc_lo
	v_cmp_lt_u64_e32 vcc_lo, 56, v[26:27]
	v_lshl_add_u32 v34, v28, 2, 28
	v_readfirstlane_b32 s10, v24
	v_readfirstlane_b32 s11, v25
	v_cndmask_b32_e32 v2, v6, v2, vcc_lo
	v_and_b32_e32 v6, 0x1e0, v34
	v_and_or_b32 v2, 0xffffff1f, v2, v6
	global_store_dwordx4 v32, v[10:13], s[10:11] offset:16
	global_store_dwordx4 v32, v[14:17], s[10:11] offset:32
	global_store_dwordx4 v32, v[2:5], s[10:11]
	global_store_dwordx4 v32, v[18:21], s[10:11] offset:48
	s_and_saveexec_b32 s5, s4
	s_cbranch_execz .LBB0_235
; %bb.228:                              ;   in Loop: Header=BB0_163 Depth=1
	s_clause 0x1
	global_load_dwordx2 v[14:15], v7, s[6:7] offset:32 glc dlc
	global_load_dwordx2 v[2:3], v7, s[6:7] offset:40
	v_mov_b32_e32 v12, s8
	v_mov_b32_e32 v13, s9
	s_waitcnt vmcnt(0)
	v_readfirstlane_b32 s10, v2
	v_readfirstlane_b32 s11, v3
	s_and_b64 s[10:11], s[10:11], s[8:9]
	s_mul_i32 s11, s11, 24
	s_mul_hi_u32 s15, s10, 24
	s_mul_i32 s10, s10, 24
	s_add_i32 s15, s15, s11
	v_add_co_u32 v10, vcc_lo, v22, s10
	v_add_co_ci_u32_e32 v11, vcc_lo, s15, v23, vcc_lo
	s_mov_b32 s10, exec_lo
	global_store_dwordx2 v[10:11], v[14:15], off
	s_waitcnt_vscnt null, 0x0
	global_atomic_cmpswap_x2 v[4:5], v7, v[12:15], s[6:7] offset:32 glc
	s_waitcnt vmcnt(0)
	v_cmpx_ne_u64_e64 v[4:5], v[14:15]
	s_cbranch_execz .LBB0_231
; %bb.229:                              ;   in Loop: Header=BB0_163 Depth=1
	s_mov_b32 s11, 0
.LBB0_230:                              ;   Parent Loop BB0_163 Depth=1
                                        ; =>  This Inner Loop Header: Depth=2
	v_mov_b32_e32 v2, s8
	v_mov_b32_e32 v3, s9
	s_sleep 1
	global_store_dwordx2 v[10:11], v[4:5], off
	s_waitcnt_vscnt null, 0x0
	global_atomic_cmpswap_x2 v[2:3], v7, v[2:5], s[6:7] offset:32 glc
	s_waitcnt vmcnt(0)
	v_cmp_eq_u64_e32 vcc_lo, v[2:3], v[4:5]
	v_mov_b32_e32 v5, v3
	v_mov_b32_e32 v4, v2
	s_or_b32 s11, vcc_lo, s11
	s_andn2_b32 exec_lo, exec_lo, s11
	s_cbranch_execnz .LBB0_230
.LBB0_231:                              ;   in Loop: Header=BB0_163 Depth=1
	s_or_b32 exec_lo, exec_lo, s10
	global_load_dwordx2 v[2:3], v7, s[6:7] offset:16
	s_mov_b32 s11, exec_lo
	s_mov_b32 s10, exec_lo
	v_mbcnt_lo_u32_b32 v4, s11, 0
	v_cmpx_eq_u32_e32 0, v4
	s_cbranch_execz .LBB0_233
; %bb.232:                              ;   in Loop: Header=BB0_163 Depth=1
	s_bcnt1_i32_b32 s11, s11
	v_mov_b32_e32 v6, s11
	s_waitcnt vmcnt(0)
	global_atomic_add_x2 v[2:3], v[6:7], off offset:8
.LBB0_233:                              ;   in Loop: Header=BB0_163 Depth=1
	s_or_b32 exec_lo, exec_lo, s10
	s_waitcnt vmcnt(0)
	global_load_dwordx2 v[4:5], v[2:3], off offset:16
	s_waitcnt vmcnt(0)
	v_cmp_eq_u64_e32 vcc_lo, 0, v[4:5]
	s_cbranch_vccnz .LBB0_235
; %bb.234:                              ;   in Loop: Header=BB0_163 Depth=1
	global_load_dword v6, v[2:3], off offset:24
	s_waitcnt vmcnt(0)
	v_and_b32_e32 v2, 0x7fffff, v6
	s_waitcnt_vscnt null, 0x0
	global_store_dwordx2 v[4:5], v[6:7], off
	v_readfirstlane_b32 m0, v2
	s_sendmsg sendmsg(MSG_INTERRUPT)
.LBB0_235:                              ;   in Loop: Header=BB0_163 Depth=1
	s_or_b32 exec_lo, exec_lo, s5
	v_add_co_u32 v2, vcc_lo, v24, v32
	v_add_co_ci_u32_e32 v3, vcc_lo, 0, v25, vcc_lo
	s_branch .LBB0_239
	.p2align	6
.LBB0_236:                              ;   in Loop: Header=BB0_239 Depth=2
	s_or_b32 exec_lo, exec_lo, s5
	v_readfirstlane_b32 s5, v4
	s_cmp_eq_u32 s5, 0
	s_cbranch_scc1 .LBB0_238
; %bb.237:                              ;   in Loop: Header=BB0_239 Depth=2
	s_sleep 1
	s_cbranch_execnz .LBB0_239
	s_branch .LBB0_241
	.p2align	6
.LBB0_238:                              ;   in Loop: Header=BB0_163 Depth=1
	s_branch .LBB0_241
.LBB0_239:                              ;   Parent Loop BB0_163 Depth=1
                                        ; =>  This Inner Loop Header: Depth=2
	v_mov_b32_e32 v4, 1
	s_and_saveexec_b32 s5, s4
	s_cbranch_execz .LBB0_236
; %bb.240:                              ;   in Loop: Header=BB0_239 Depth=2
	global_load_dword v4, v[30:31], off offset:20 glc dlc
	s_waitcnt vmcnt(0)
	buffer_gl1_inv
	buffer_gl0_inv
	v_and_b32_e32 v4, 1, v4
	s_branch .LBB0_236
.LBB0_241:                              ;   in Loop: Header=BB0_163 Depth=1
	global_load_dwordx4 v[2:5], v[2:3], off
	s_and_saveexec_b32 s5, s4
	s_cbranch_execz .LBB0_162
; %bb.242:                              ;   in Loop: Header=BB0_163 Depth=1
	s_clause 0x2
	global_load_dwordx2 v[4:5], v7, s[6:7] offset:40
	global_load_dwordx2 v[14:15], v7, s[6:7] offset:24 glc dlc
	global_load_dwordx2 v[12:13], v7, s[6:7]
	s_waitcnt vmcnt(2)
	v_add_co_u32 v6, vcc_lo, v4, 1
	v_add_co_ci_u32_e32 v16, vcc_lo, 0, v5, vcc_lo
	v_add_co_u32 v10, vcc_lo, v6, s8
	v_add_co_ci_u32_e32 v11, vcc_lo, s9, v16, vcc_lo
	v_cmp_eq_u64_e32 vcc_lo, 0, v[10:11]
	v_cndmask_b32_e32 v11, v11, v16, vcc_lo
	v_cndmask_b32_e32 v10, v10, v6, vcc_lo
	v_and_b32_e32 v5, v11, v5
	v_and_b32_e32 v4, v10, v4
	v_mul_lo_u32 v5, v5, 24
	v_mul_hi_u32 v6, v4, 24
	v_mul_lo_u32 v4, v4, 24
	v_add_nc_u32_e32 v5, v6, v5
	s_waitcnt vmcnt(0)
	v_add_co_u32 v4, vcc_lo, v12, v4
	v_mov_b32_e32 v12, v14
	v_add_co_ci_u32_e32 v5, vcc_lo, v13, v5, vcc_lo
	v_mov_b32_e32 v13, v15
	global_store_dwordx2 v[4:5], v[14:15], off
	s_waitcnt_vscnt null, 0x0
	global_atomic_cmpswap_x2 v[12:13], v7, v[10:13], s[6:7] offset:24 glc
	s_waitcnt vmcnt(0)
	v_cmp_ne_u64_e32 vcc_lo, v[12:13], v[14:15]
	s_and_b32 exec_lo, exec_lo, vcc_lo
	s_cbranch_execz .LBB0_162
; %bb.243:                              ;   in Loop: Header=BB0_163 Depth=1
	s_mov_b32 s4, 0
.LBB0_244:                              ;   Parent Loop BB0_163 Depth=1
                                        ; =>  This Inner Loop Header: Depth=2
	s_sleep 1
	global_store_dwordx2 v[4:5], v[12:13], off
	s_waitcnt_vscnt null, 0x0
	global_atomic_cmpswap_x2 v[14:15], v7, v[10:13], s[6:7] offset:24 glc
	s_waitcnt vmcnt(0)
	v_cmp_eq_u64_e32 vcc_lo, v[14:15], v[12:13]
	v_mov_b32_e32 v12, v14
	v_mov_b32_e32 v13, v15
	s_or_b32 s4, vcc_lo, s4
	s_andn2_b32 exec_lo, exec_lo, s4
	s_cbranch_execnz .LBB0_244
	s_branch .LBB0_162
.LBB0_245:
	s_and_saveexec_b32 s10, s4
	s_cbranch_execz .LBB0_249
; %bb.246:
	v_mov_b32_e32 v6, 0
	s_clause 0x2
	global_load_dwordx2 v[2:3], v6, s[6:7] offset:40
	global_load_dwordx2 v[7:8], v6, s[6:7] offset:24 glc dlc
	global_load_dwordx2 v[4:5], v6, s[6:7]
	s_waitcnt vmcnt(2)
	v_add_co_u32 v9, vcc_lo, v2, 1
	v_add_co_ci_u32_e32 v10, vcc_lo, 0, v3, vcc_lo
	v_add_co_u32 v0, vcc_lo, v9, s8
	v_add_co_ci_u32_e32 v1, vcc_lo, s9, v10, vcc_lo
	v_cmp_eq_u64_e32 vcc_lo, 0, v[0:1]
	v_cndmask_b32_e32 v1, v1, v10, vcc_lo
	v_cndmask_b32_e32 v0, v0, v9, vcc_lo
	v_and_b32_e32 v3, v1, v3
	v_and_b32_e32 v2, v0, v2
	v_mul_lo_u32 v3, v3, 24
	v_mul_hi_u32 v9, v2, 24
	v_mul_lo_u32 v2, v2, 24
	v_add_nc_u32_e32 v3, v9, v3
	s_waitcnt vmcnt(0)
	v_add_co_u32 v4, vcc_lo, v4, v2
	v_mov_b32_e32 v2, v7
	v_add_co_ci_u32_e32 v5, vcc_lo, v5, v3, vcc_lo
	v_mov_b32_e32 v3, v8
	global_store_dwordx2 v[4:5], v[7:8], off
	s_waitcnt_vscnt null, 0x0
	global_atomic_cmpswap_x2 v[2:3], v6, v[0:3], s[6:7] offset:24 glc
	s_waitcnt vmcnt(0)
	v_cmp_ne_u64_e32 vcc_lo, v[2:3], v[7:8]
	s_and_b32 exec_lo, exec_lo, vcc_lo
	s_cbranch_execz .LBB0_249
; %bb.247:
	s_mov_b32 s4, 0
.LBB0_248:                              ; =>This Inner Loop Header: Depth=1
	s_sleep 1
	global_store_dwordx2 v[4:5], v[2:3], off
	s_waitcnt_vscnt null, 0x0
	global_atomic_cmpswap_x2 v[7:8], v6, v[0:3], s[6:7] offset:24 glc
	s_waitcnt vmcnt(0)
	v_cmp_eq_u64_e32 vcc_lo, v[7:8], v[2:3]
	v_mov_b32_e32 v2, v7
	v_mov_b32_e32 v3, v8
	s_or_b32 s4, vcc_lo, s4
	s_andn2_b32 exec_lo, exec_lo, s4
	s_cbranch_execnz .LBB0_248
.LBB0_249:
	s_or_b32 exec_lo, exec_lo, s10
	s_or_b32 exec_lo, exec_lo, s5
	s_waitcnt lgkmcnt(0)
	s_setpc_b64 s[30:31]
.LBB0_250:
	s_or_b32 exec_lo, exec_lo, s13
                                        ; implicit-def: $vgpr2_vgpr3
                                        ; implicit-def: $vgpr32
                                        ; implicit-def: $vgpr33
	s_andn2_saveexec_b32 s5, s12
	s_cbranch_execnz .LBB0_136
.LBB0_251:
	s_or_b32 exec_lo, exec_lo, s5
	s_waitcnt vmcnt(0) lgkmcnt(0)
	s_setpc_b64 s[30:31]
.Lfunc_end0:
	.size	_ZNK8migraphx13basic_printerIZNS_4coutEvEUlT_E_ElsEPKc, .Lfunc_end0-_ZNK8migraphx13basic_printerIZNS_4coutEvEUlT_E_ElsEPKc
                                        ; -- End function
	.section	.AMDGPU.csdata,"",@progbits
; Function info:
; codeLenInByte = 9188
; NumSgprs: 34
; NumVgprs: 36
; ScratchSize: 0
; MemoryBound: 0
	.text
	.p2align	2                               ; -- Begin function _ZN8migraphx4test12print_streamIKNS_13basic_printerIZNS_4coutEvEUlT_E_EEPiEEvRS3_RKT0_
	.type	_ZN8migraphx4test12print_streamIKNS_13basic_printerIZNS_4coutEvEUlT_E_EEPiEEvRS3_RKT0_,@function
_ZN8migraphx4test12print_streamIKNS_13basic_printerIZNS_4coutEvEUlT_E_EEPiEEvRS3_RKT0_: ; @_ZN8migraphx4test12print_streamIKNS_13basic_printerIZNS_4coutEvEUlT_E_EEPiEEvRS3_RKT0_
; %bb.0:
	s_waitcnt vmcnt(0) expcnt(0) lgkmcnt(0)
	s_load_dwordx2 s[6:7], s[8:9], 0x50
	v_mbcnt_lo_u32_b32 v28, -1, 0
	s_mov_b32 s4, exec_lo
	v_cmpx_ne_u64_e32 0, v[0:1]
	s_xor_b32 s18, exec_lo, s4
	s_cbranch_execz .LBB1_106
; %bb.1:
	v_readfirstlane_b32 s4, v28
	v_mov_b32_e32 v6, 0
	v_mov_b32_e32 v7, 0
	v_cmp_eq_u32_e64 s4, s4, v28
	s_and_saveexec_b32 s5, s4
	s_cbranch_execz .LBB1_7
; %bb.2:
	v_mov_b32_e32 v0, 0
	s_mov_b32 s8, exec_lo
	s_waitcnt lgkmcnt(0)
	global_load_dwordx2 v[3:4], v0, s[6:7] offset:24 glc dlc
	s_waitcnt vmcnt(0)
	buffer_gl1_inv
	buffer_gl0_inv
	s_clause 0x1
	global_load_dwordx2 v[1:2], v0, s[6:7] offset:40
	global_load_dwordx2 v[5:6], v0, s[6:7]
	s_waitcnt vmcnt(1)
	v_and_b32_e32 v2, v2, v4
	v_and_b32_e32 v1, v1, v3
	v_mul_lo_u32 v2, v2, 24
	v_mul_hi_u32 v7, v1, 24
	v_mul_lo_u32 v1, v1, 24
	v_add_nc_u32_e32 v2, v7, v2
	s_waitcnt vmcnt(0)
	v_add_co_u32 v1, vcc_lo, v5, v1
	v_add_co_ci_u32_e32 v2, vcc_lo, v6, v2, vcc_lo
	global_load_dwordx2 v[1:2], v[1:2], off glc dlc
	s_waitcnt vmcnt(0)
	global_atomic_cmpswap_x2 v[6:7], v0, v[1:4], s[6:7] offset:24 glc
	s_waitcnt vmcnt(0)
	buffer_gl1_inv
	buffer_gl0_inv
	v_cmpx_ne_u64_e64 v[6:7], v[3:4]
	s_cbranch_execz .LBB1_6
; %bb.3:
	s_mov_b32 s9, 0
	.p2align	6
.LBB1_4:                                ; =>This Inner Loop Header: Depth=1
	s_sleep 1
	s_clause 0x1
	global_load_dwordx2 v[1:2], v0, s[6:7] offset:40
	global_load_dwordx2 v[8:9], v0, s[6:7]
	v_mov_b32_e32 v3, v6
	v_mov_b32_e32 v4, v7
	s_waitcnt vmcnt(1)
	v_and_b32_e32 v1, v1, v3
	v_and_b32_e32 v2, v2, v4
	s_waitcnt vmcnt(0)
	v_mad_u64_u32 v[5:6], null, v1, 24, v[8:9]
	v_mov_b32_e32 v1, v6
	v_mad_u64_u32 v[1:2], null, v2, 24, v[1:2]
	v_mov_b32_e32 v6, v1
	global_load_dwordx2 v[1:2], v[5:6], off glc dlc
	s_waitcnt vmcnt(0)
	global_atomic_cmpswap_x2 v[6:7], v0, v[1:4], s[6:7] offset:24 glc
	s_waitcnt vmcnt(0)
	buffer_gl1_inv
	buffer_gl0_inv
	v_cmp_eq_u64_e32 vcc_lo, v[6:7], v[3:4]
	s_or_b32 s9, vcc_lo, s9
	s_andn2_b32 exec_lo, exec_lo, s9
	s_cbranch_execnz .LBB1_4
; %bb.5:
	s_or_b32 exec_lo, exec_lo, s9
.LBB1_6:
	s_or_b32 exec_lo, exec_lo, s8
.LBB1_7:
	s_or_b32 exec_lo, exec_lo, s5
	v_mov_b32_e32 v5, 0
	v_readfirstlane_b32 s8, v6
	v_readfirstlane_b32 s9, v7
	s_mov_b32 s5, exec_lo
	s_waitcnt lgkmcnt(0)
	s_clause 0x1
	global_load_dwordx2 v[8:9], v5, s[6:7] offset:40
	global_load_dwordx4 v[0:3], v5, s[6:7]
	s_waitcnt vmcnt(1)
	v_readfirstlane_b32 s10, v8
	v_readfirstlane_b32 s11, v9
	s_and_b64 s[10:11], s[8:9], s[10:11]
	s_mul_i32 s12, s11, 24
	s_mul_hi_u32 s13, s10, 24
	s_mul_i32 s14, s10, 24
	s_add_i32 s13, s13, s12
	s_waitcnt vmcnt(0)
	v_add_co_u32 v8, vcc_lo, v0, s14
	v_add_co_ci_u32_e32 v9, vcc_lo, s13, v1, vcc_lo
	s_and_saveexec_b32 s12, s4
	s_cbranch_execz .LBB1_9
; %bb.8:
	v_mov_b32_e32 v4, s5
	v_mov_b32_e32 v6, 2
	;; [unrolled: 1-line block ×3, first 2 shown]
	global_store_dwordx4 v[8:9], v[4:7], off offset:8
.LBB1_9:
	s_or_b32 exec_lo, exec_lo, s12
	s_lshl_b64 s[10:11], s[10:11], 12
	v_lshlrev_b32_e32 v29, 6, v28
	v_add_co_u32 v2, vcc_lo, v2, s10
	v_add_co_ci_u32_e32 v3, vcc_lo, s11, v3, vcc_lo
	s_mov_b32 s12, 0
	v_add_co_u32 v10, vcc_lo, v2, v29
	s_mov_b32 s13, s12
	s_mov_b32 s14, s12
	;; [unrolled: 1-line block ×3, first 2 shown]
	v_mov_b32_e32 v4, 33
	v_mov_b32_e32 v6, v5
	;; [unrolled: 1-line block ×3, first 2 shown]
	v_readfirstlane_b32 s10, v2
	v_readfirstlane_b32 s11, v3
	v_mov_b32_e32 v12, s12
	v_add_co_ci_u32_e32 v11, vcc_lo, 0, v3, vcc_lo
	v_mov_b32_e32 v13, s13
	v_mov_b32_e32 v14, s14
	;; [unrolled: 1-line block ×3, first 2 shown]
	global_store_dwordx4 v29, v[4:7], s[10:11]
	global_store_dwordx4 v29, v[12:15], s[10:11] offset:16
	global_store_dwordx4 v29, v[12:15], s[10:11] offset:32
	;; [unrolled: 1-line block ×3, first 2 shown]
	s_and_saveexec_b32 s5, s4
	s_cbranch_execz .LBB1_17
; %bb.10:
	v_mov_b32_e32 v6, 0
	v_mov_b32_e32 v12, s8
	;; [unrolled: 1-line block ×3, first 2 shown]
	s_mov_b32 s10, exec_lo
	s_clause 0x1
	global_load_dwordx2 v[14:15], v6, s[6:7] offset:32 glc dlc
	global_load_dwordx2 v[2:3], v6, s[6:7] offset:40
	s_waitcnt vmcnt(0)
	v_and_b32_e32 v3, s9, v3
	v_and_b32_e32 v2, s8, v2
	v_mul_lo_u32 v3, v3, 24
	v_mul_hi_u32 v4, v2, 24
	v_mul_lo_u32 v2, v2, 24
	v_add_nc_u32_e32 v3, v4, v3
	v_add_co_u32 v4, vcc_lo, v0, v2
	v_add_co_ci_u32_e32 v5, vcc_lo, v1, v3, vcc_lo
	global_store_dwordx2 v[4:5], v[14:15], off
	s_waitcnt_vscnt null, 0x0
	global_atomic_cmpswap_x2 v[2:3], v6, v[12:15], s[6:7] offset:32 glc
	s_waitcnt vmcnt(0)
	v_cmpx_ne_u64_e64 v[2:3], v[14:15]
	s_cbranch_execz .LBB1_13
; %bb.11:
	s_mov_b32 s11, 0
.LBB1_12:                               ; =>This Inner Loop Header: Depth=1
	v_mov_b32_e32 v0, s8
	v_mov_b32_e32 v1, s9
	s_sleep 1
	global_store_dwordx2 v[4:5], v[2:3], off
	s_waitcnt_vscnt null, 0x0
	global_atomic_cmpswap_x2 v[0:1], v6, v[0:3], s[6:7] offset:32 glc
	s_waitcnt vmcnt(0)
	v_cmp_eq_u64_e32 vcc_lo, v[0:1], v[2:3]
	v_mov_b32_e32 v3, v1
	v_mov_b32_e32 v2, v0
	s_or_b32 s11, vcc_lo, s11
	s_andn2_b32 exec_lo, exec_lo, s11
	s_cbranch_execnz .LBB1_12
.LBB1_13:
	s_or_b32 exec_lo, exec_lo, s10
	v_mov_b32_e32 v3, 0
	s_mov_b32 s11, exec_lo
	s_mov_b32 s10, exec_lo
	v_mbcnt_lo_u32_b32 v2, s11, 0
	global_load_dwordx2 v[0:1], v3, s[6:7] offset:16
	v_cmpx_eq_u32_e32 0, v2
	s_cbranch_execz .LBB1_15
; %bb.14:
	s_bcnt1_i32_b32 s11, s11
	v_mov_b32_e32 v2, s11
	s_waitcnt vmcnt(0)
	global_atomic_add_x2 v[0:1], v[2:3], off offset:8
.LBB1_15:
	s_or_b32 exec_lo, exec_lo, s10
	s_waitcnt vmcnt(0)
	global_load_dwordx2 v[2:3], v[0:1], off offset:16
	s_waitcnt vmcnt(0)
	v_cmp_eq_u64_e32 vcc_lo, 0, v[2:3]
	s_cbranch_vccnz .LBB1_17
; %bb.16:
	global_load_dword v0, v[0:1], off offset:24
	v_mov_b32_e32 v1, 0
	s_waitcnt vmcnt(0)
	v_and_b32_e32 v4, 0x7fffff, v0
	s_waitcnt_vscnt null, 0x0
	global_store_dwordx2 v[2:3], v[0:1], off
	v_readfirstlane_b32 m0, v4
	s_sendmsg sendmsg(MSG_INTERRUPT)
.LBB1_17:
	s_or_b32 exec_lo, exec_lo, s5
	s_branch .LBB1_21
	.p2align	6
.LBB1_18:                               ;   in Loop: Header=BB1_21 Depth=1
	s_or_b32 exec_lo, exec_lo, s5
	v_readfirstlane_b32 s5, v0
	s_cmp_eq_u32 s5, 0
	s_cbranch_scc1 .LBB1_20
; %bb.19:                               ;   in Loop: Header=BB1_21 Depth=1
	s_sleep 1
	s_cbranch_execnz .LBB1_21
	s_branch .LBB1_23
	.p2align	6
.LBB1_20:
	s_branch .LBB1_23
.LBB1_21:                               ; =>This Inner Loop Header: Depth=1
	v_mov_b32_e32 v0, 1
	s_and_saveexec_b32 s5, s4
	s_cbranch_execz .LBB1_18
; %bb.22:                               ;   in Loop: Header=BB1_21 Depth=1
	global_load_dword v0, v[8:9], off offset:20 glc dlc
	s_waitcnt vmcnt(0)
	buffer_gl1_inv
	buffer_gl0_inv
	v_and_b32_e32 v0, 1, v0
	s_branch .LBB1_18
.LBB1_23:
	global_load_dwordx2 v[0:1], v[10:11], off
	s_and_saveexec_b32 s5, s4
	s_cbranch_execz .LBB1_27
; %bb.24:
	v_mov_b32_e32 v8, 0
	s_clause 0x2
	global_load_dwordx2 v[4:5], v8, s[6:7] offset:40
	global_load_dwordx2 v[9:10], v8, s[6:7] offset:24 glc dlc
	global_load_dwordx2 v[6:7], v8, s[6:7]
	s_waitcnt vmcnt(2)
	v_add_co_u32 v11, vcc_lo, v4, 1
	v_add_co_ci_u32_e32 v12, vcc_lo, 0, v5, vcc_lo
	v_add_co_u32 v2, vcc_lo, v11, s8
	v_add_co_ci_u32_e32 v3, vcc_lo, s9, v12, vcc_lo
	v_cmp_eq_u64_e32 vcc_lo, 0, v[2:3]
	v_cndmask_b32_e32 v3, v3, v12, vcc_lo
	v_cndmask_b32_e32 v2, v2, v11, vcc_lo
	v_and_b32_e32 v5, v3, v5
	v_and_b32_e32 v4, v2, v4
	v_mul_lo_u32 v5, v5, 24
	v_mul_hi_u32 v11, v4, 24
	v_mul_lo_u32 v4, v4, 24
	v_add_nc_u32_e32 v5, v11, v5
	s_waitcnt vmcnt(0)
	v_add_co_u32 v6, vcc_lo, v6, v4
	v_mov_b32_e32 v4, v9
	v_add_co_ci_u32_e32 v7, vcc_lo, v7, v5, vcc_lo
	v_mov_b32_e32 v5, v10
	global_store_dwordx2 v[6:7], v[9:10], off
	s_waitcnt_vscnt null, 0x0
	global_atomic_cmpswap_x2 v[4:5], v8, v[2:5], s[6:7] offset:24 glc
	s_waitcnt vmcnt(0)
	v_cmp_ne_u64_e32 vcc_lo, v[4:5], v[9:10]
	s_and_b32 exec_lo, exec_lo, vcc_lo
	s_cbranch_execz .LBB1_27
; %bb.25:
	s_mov_b32 s4, 0
.LBB1_26:                               ; =>This Inner Loop Header: Depth=1
	s_sleep 1
	global_store_dwordx2 v[6:7], v[4:5], off
	s_waitcnt_vscnt null, 0x0
	global_atomic_cmpswap_x2 v[9:10], v8, v[2:5], s[6:7] offset:24 glc
	s_waitcnt vmcnt(0)
	v_cmp_eq_u64_e32 vcc_lo, v[9:10], v[4:5]
	v_mov_b32_e32 v4, v9
	v_mov_b32_e32 v5, v10
	s_or_b32 s4, vcc_lo, s4
	s_andn2_b32 exec_lo, exec_lo, s4
	s_cbranch_execnz .LBB1_26
.LBB1_27:
	s_or_b32 exec_lo, exec_lo, s5
	s_getpc_b64 s[8:9]
	s_add_u32 s8, s8, .str.11@rel32@lo+4
	s_addc_u32 s9, s9, .str.11@rel32@hi+12
	s_cmp_lg_u64 s[8:9], 0
	s_cbranch_scc0 .LBB1_213
; %bb.28:
	s_waitcnt vmcnt(0)
	v_and_b32_e32 v6, -3, v0
	v_mov_b32_e32 v7, v1
	v_mov_b32_e32 v3, 0
	;; [unrolled: 1-line block ×4, first 2 shown]
	s_mov_b64 s[10:11], 5
	s_branch .LBB1_30
.LBB1_29:                               ;   in Loop: Header=BB1_30 Depth=1
	s_or_b32 exec_lo, exec_lo, s5
	s_sub_u32 s10, s10, s12
	s_subb_u32 s11, s11, s13
	s_add_u32 s8, s8, s12
	s_addc_u32 s9, s9, s13
	s_cmp_eq_u64 s[10:11], 0
	s_cbranch_scc1 .LBB1_105
.LBB1_30:                               ; =>This Loop Header: Depth=1
                                        ;     Child Loop BB1_39 Depth 2
                                        ;     Child Loop BB1_35 Depth 2
	;; [unrolled: 1-line block ×11, first 2 shown]
	v_cmp_lt_u64_e64 s4, s[10:11], 56
	v_cmp_gt_u64_e64 s5, s[10:11], 7
                                        ; implicit-def: $sgpr19
	s_and_b32 s4, s4, exec_lo
	s_cselect_b32 s13, s11, 0
	s_cselect_b32 s12, s10, 56
	s_and_b32 vcc_lo, exec_lo, s5
	s_mov_b32 s4, -1
	s_cbranch_vccz .LBB1_37
; %bb.31:                               ;   in Loop: Header=BB1_30 Depth=1
	s_andn2_b32 vcc_lo, exec_lo, s4
	s_mov_b64 s[4:5], s[8:9]
	s_cbranch_vccz .LBB1_41
.LBB1_32:                               ;   in Loop: Header=BB1_30 Depth=1
	s_cmp_gt_u32 s19, 7
	s_cbranch_scc1 .LBB1_42
.LBB1_33:                               ;   in Loop: Header=BB1_30 Depth=1
	v_mov_b32_e32 v10, 0
	v_mov_b32_e32 v11, 0
	s_cmp_eq_u32 s19, 0
	s_cbranch_scc1 .LBB1_36
; %bb.34:                               ;   in Loop: Header=BB1_30 Depth=1
	s_mov_b64 s[14:15], 0
	s_mov_b64 s[16:17], 0
.LBB1_35:                               ;   Parent Loop BB1_30 Depth=1
                                        ; =>  This Inner Loop Header: Depth=2
	s_add_u32 s20, s4, s16
	s_addc_u32 s21, s5, s17
	s_add_u32 s16, s16, 1
	global_load_ubyte v2, v3, s[20:21]
	s_addc_u32 s17, s17, 0
	s_waitcnt vmcnt(0)
	v_and_b32_e32 v2, 0xffff, v2
	v_lshlrev_b64 v[12:13], s14, v[2:3]
	s_add_u32 s14, s14, 8
	s_addc_u32 s15, s15, 0
	s_cmp_lg_u32 s19, s16
	v_or_b32_e32 v10, v12, v10
	v_or_b32_e32 v11, v13, v11
	s_cbranch_scc1 .LBB1_35
.LBB1_36:                               ;   in Loop: Header=BB1_30 Depth=1
	s_mov_b32 s20, 0
	s_cbranch_execz .LBB1_43
	s_branch .LBB1_44
.LBB1_37:                               ;   in Loop: Header=BB1_30 Depth=1
	s_waitcnt vmcnt(0)
	v_mov_b32_e32 v8, 0
	v_mov_b32_e32 v9, 0
	s_cmp_eq_u64 s[10:11], 0
	s_mov_b64 s[4:5], 0
	s_cbranch_scc1 .LBB1_40
; %bb.38:                               ;   in Loop: Header=BB1_30 Depth=1
	v_mov_b32_e32 v8, 0
	v_mov_b32_e32 v9, 0
	s_lshl_b64 s[14:15], s[12:13], 3
	s_mov_b64 s[16:17], s[8:9]
.LBB1_39:                               ;   Parent Loop BB1_30 Depth=1
                                        ; =>  This Inner Loop Header: Depth=2
	global_load_ubyte v2, v3, s[16:17]
	s_waitcnt vmcnt(0)
	v_and_b32_e32 v2, 0xffff, v2
	v_lshlrev_b64 v[10:11], s4, v[2:3]
	s_add_u32 s4, s4, 8
	s_addc_u32 s5, s5, 0
	s_add_u32 s16, s16, 1
	s_addc_u32 s17, s17, 0
	s_cmp_lg_u32 s14, s4
	v_or_b32_e32 v8, v10, v8
	v_or_b32_e32 v9, v11, v9
	s_cbranch_scc1 .LBB1_39
.LBB1_40:                               ;   in Loop: Header=BB1_30 Depth=1
	s_mov_b32 s19, 0
	s_mov_b64 s[4:5], s[8:9]
	s_cbranch_execnz .LBB1_32
.LBB1_41:                               ;   in Loop: Header=BB1_30 Depth=1
	global_load_dwordx2 v[8:9], v3, s[8:9]
	s_add_i32 s19, s12, -8
	s_add_u32 s4, s8, 8
	s_addc_u32 s5, s9, 0
	s_cmp_gt_u32 s19, 7
	s_cbranch_scc0 .LBB1_33
.LBB1_42:                               ;   in Loop: Header=BB1_30 Depth=1
                                        ; implicit-def: $vgpr10_vgpr11
                                        ; implicit-def: $sgpr20
.LBB1_43:                               ;   in Loop: Header=BB1_30 Depth=1
	global_load_dwordx2 v[10:11], v3, s[4:5]
	s_add_i32 s20, s19, -8
	s_add_u32 s4, s4, 8
	s_addc_u32 s5, s5, 0
.LBB1_44:                               ;   in Loop: Header=BB1_30 Depth=1
	s_cmp_gt_u32 s20, 7
	s_cbranch_scc1 .LBB1_49
; %bb.45:                               ;   in Loop: Header=BB1_30 Depth=1
	v_mov_b32_e32 v12, 0
	v_mov_b32_e32 v13, 0
	s_cmp_eq_u32 s20, 0
	s_cbranch_scc1 .LBB1_48
; %bb.46:                               ;   in Loop: Header=BB1_30 Depth=1
	s_mov_b64 s[14:15], 0
	s_mov_b64 s[16:17], 0
.LBB1_47:                               ;   Parent Loop BB1_30 Depth=1
                                        ; =>  This Inner Loop Header: Depth=2
	s_add_u32 s22, s4, s16
	s_addc_u32 s23, s5, s17
	s_add_u32 s16, s16, 1
	global_load_ubyte v2, v3, s[22:23]
	s_addc_u32 s17, s17, 0
	s_waitcnt vmcnt(0)
	v_and_b32_e32 v2, 0xffff, v2
	v_lshlrev_b64 v[14:15], s14, v[2:3]
	s_add_u32 s14, s14, 8
	s_addc_u32 s15, s15, 0
	s_cmp_lg_u32 s20, s16
	v_or_b32_e32 v12, v14, v12
	v_or_b32_e32 v13, v15, v13
	s_cbranch_scc1 .LBB1_47
.LBB1_48:                               ;   in Loop: Header=BB1_30 Depth=1
	s_mov_b32 s19, 0
	s_cbranch_execz .LBB1_50
	s_branch .LBB1_51
.LBB1_49:                               ;   in Loop: Header=BB1_30 Depth=1
                                        ; implicit-def: $sgpr19
.LBB1_50:                               ;   in Loop: Header=BB1_30 Depth=1
	global_load_dwordx2 v[12:13], v3, s[4:5]
	s_add_i32 s19, s20, -8
	s_add_u32 s4, s4, 8
	s_addc_u32 s5, s5, 0
.LBB1_51:                               ;   in Loop: Header=BB1_30 Depth=1
	s_cmp_gt_u32 s19, 7
	s_cbranch_scc1 .LBB1_56
; %bb.52:                               ;   in Loop: Header=BB1_30 Depth=1
	v_mov_b32_e32 v14, 0
	v_mov_b32_e32 v15, 0
	s_cmp_eq_u32 s19, 0
	s_cbranch_scc1 .LBB1_55
; %bb.53:                               ;   in Loop: Header=BB1_30 Depth=1
	s_mov_b64 s[14:15], 0
	s_mov_b64 s[16:17], 0
.LBB1_54:                               ;   Parent Loop BB1_30 Depth=1
                                        ; =>  This Inner Loop Header: Depth=2
	s_add_u32 s20, s4, s16
	s_addc_u32 s21, s5, s17
	s_add_u32 s16, s16, 1
	global_load_ubyte v2, v3, s[20:21]
	s_addc_u32 s17, s17, 0
	s_waitcnt vmcnt(0)
	v_and_b32_e32 v2, 0xffff, v2
	v_lshlrev_b64 v[16:17], s14, v[2:3]
	s_add_u32 s14, s14, 8
	s_addc_u32 s15, s15, 0
	s_cmp_lg_u32 s19, s16
	v_or_b32_e32 v14, v16, v14
	v_or_b32_e32 v15, v17, v15
	s_cbranch_scc1 .LBB1_54
.LBB1_55:                               ;   in Loop: Header=BB1_30 Depth=1
	s_mov_b32 s20, 0
	s_cbranch_execz .LBB1_57
	s_branch .LBB1_58
.LBB1_56:                               ;   in Loop: Header=BB1_30 Depth=1
                                        ; implicit-def: $vgpr14_vgpr15
                                        ; implicit-def: $sgpr20
.LBB1_57:                               ;   in Loop: Header=BB1_30 Depth=1
	global_load_dwordx2 v[14:15], v3, s[4:5]
	s_add_i32 s20, s19, -8
	s_add_u32 s4, s4, 8
	s_addc_u32 s5, s5, 0
.LBB1_58:                               ;   in Loop: Header=BB1_30 Depth=1
	s_cmp_gt_u32 s20, 7
	s_cbranch_scc1 .LBB1_63
; %bb.59:                               ;   in Loop: Header=BB1_30 Depth=1
	v_mov_b32_e32 v16, 0
	v_mov_b32_e32 v17, 0
	s_cmp_eq_u32 s20, 0
	s_cbranch_scc1 .LBB1_62
; %bb.60:                               ;   in Loop: Header=BB1_30 Depth=1
	s_mov_b64 s[14:15], 0
	s_mov_b64 s[16:17], 0
.LBB1_61:                               ;   Parent Loop BB1_30 Depth=1
                                        ; =>  This Inner Loop Header: Depth=2
	s_add_u32 s22, s4, s16
	s_addc_u32 s23, s5, s17
	s_add_u32 s16, s16, 1
	global_load_ubyte v2, v3, s[22:23]
	s_addc_u32 s17, s17, 0
	s_waitcnt vmcnt(0)
	v_and_b32_e32 v2, 0xffff, v2
	v_lshlrev_b64 v[18:19], s14, v[2:3]
	s_add_u32 s14, s14, 8
	s_addc_u32 s15, s15, 0
	s_cmp_lg_u32 s20, s16
	v_or_b32_e32 v16, v18, v16
	v_or_b32_e32 v17, v19, v17
	s_cbranch_scc1 .LBB1_61
.LBB1_62:                               ;   in Loop: Header=BB1_30 Depth=1
	s_mov_b32 s19, 0
	s_cbranch_execz .LBB1_64
	s_branch .LBB1_65
.LBB1_63:                               ;   in Loop: Header=BB1_30 Depth=1
                                        ; implicit-def: $sgpr19
.LBB1_64:                               ;   in Loop: Header=BB1_30 Depth=1
	global_load_dwordx2 v[16:17], v3, s[4:5]
	s_add_i32 s19, s20, -8
	s_add_u32 s4, s4, 8
	s_addc_u32 s5, s5, 0
.LBB1_65:                               ;   in Loop: Header=BB1_30 Depth=1
	s_cmp_gt_u32 s19, 7
	s_cbranch_scc1 .LBB1_70
; %bb.66:                               ;   in Loop: Header=BB1_30 Depth=1
	v_mov_b32_e32 v18, 0
	v_mov_b32_e32 v19, 0
	s_cmp_eq_u32 s19, 0
	s_cbranch_scc1 .LBB1_69
; %bb.67:                               ;   in Loop: Header=BB1_30 Depth=1
	s_mov_b64 s[14:15], 0
	s_mov_b64 s[16:17], 0
.LBB1_68:                               ;   Parent Loop BB1_30 Depth=1
                                        ; =>  This Inner Loop Header: Depth=2
	s_add_u32 s20, s4, s16
	s_addc_u32 s21, s5, s17
	s_add_u32 s16, s16, 1
	global_load_ubyte v2, v3, s[20:21]
	s_addc_u32 s17, s17, 0
	s_waitcnt vmcnt(0)
	v_and_b32_e32 v2, 0xffff, v2
	v_lshlrev_b64 v[20:21], s14, v[2:3]
	s_add_u32 s14, s14, 8
	s_addc_u32 s15, s15, 0
	s_cmp_lg_u32 s19, s16
	v_or_b32_e32 v18, v20, v18
	v_or_b32_e32 v19, v21, v19
	s_cbranch_scc1 .LBB1_68
.LBB1_69:                               ;   in Loop: Header=BB1_30 Depth=1
	s_mov_b32 s20, 0
	s_cbranch_execz .LBB1_71
	s_branch .LBB1_72
.LBB1_70:                               ;   in Loop: Header=BB1_30 Depth=1
                                        ; implicit-def: $vgpr18_vgpr19
                                        ; implicit-def: $sgpr20
.LBB1_71:                               ;   in Loop: Header=BB1_30 Depth=1
	global_load_dwordx2 v[18:19], v3, s[4:5]
	s_add_i32 s20, s19, -8
	s_add_u32 s4, s4, 8
	s_addc_u32 s5, s5, 0
.LBB1_72:                               ;   in Loop: Header=BB1_30 Depth=1
	s_cmp_gt_u32 s20, 7
	s_cbranch_scc1 .LBB1_77
; %bb.73:                               ;   in Loop: Header=BB1_30 Depth=1
	v_mov_b32_e32 v20, 0
	v_mov_b32_e32 v21, 0
	s_cmp_eq_u32 s20, 0
	s_cbranch_scc1 .LBB1_76
; %bb.74:                               ;   in Loop: Header=BB1_30 Depth=1
	s_mov_b64 s[14:15], 0
	s_mov_b64 s[16:17], s[4:5]
.LBB1_75:                               ;   Parent Loop BB1_30 Depth=1
                                        ; =>  This Inner Loop Header: Depth=2
	global_load_ubyte v2, v3, s[16:17]
	s_add_i32 s20, s20, -1
	s_waitcnt vmcnt(0)
	v_and_b32_e32 v2, 0xffff, v2
	v_lshlrev_b64 v[22:23], s14, v[2:3]
	s_add_u32 s14, s14, 8
	s_addc_u32 s15, s15, 0
	s_add_u32 s16, s16, 1
	s_addc_u32 s17, s17, 0
	s_cmp_lg_u32 s20, 0
	v_or_b32_e32 v20, v22, v20
	v_or_b32_e32 v21, v23, v21
	s_cbranch_scc1 .LBB1_75
.LBB1_76:                               ;   in Loop: Header=BB1_30 Depth=1
	s_cbranch_execz .LBB1_78
	s_branch .LBB1_79
.LBB1_77:                               ;   in Loop: Header=BB1_30 Depth=1
.LBB1_78:                               ;   in Loop: Header=BB1_30 Depth=1
	global_load_dwordx2 v[20:21], v3, s[4:5]
.LBB1_79:                               ;   in Loop: Header=BB1_30 Depth=1
	v_readfirstlane_b32 s4, v28
	v_mov_b32_e32 v26, 0
	v_mov_b32_e32 v27, 0
	v_cmp_eq_u32_e64 s4, s4, v28
	s_and_saveexec_b32 s5, s4
	s_cbranch_execz .LBB1_85
; %bb.80:                               ;   in Loop: Header=BB1_30 Depth=1
	global_load_dwordx2 v[24:25], v3, s[6:7] offset:24 glc dlc
	s_waitcnt vmcnt(0)
	buffer_gl1_inv
	buffer_gl0_inv
	s_clause 0x1
	global_load_dwordx2 v[22:23], v3, s[6:7] offset:40
	global_load_dwordx2 v[26:27], v3, s[6:7]
	s_mov_b32 s14, exec_lo
	s_waitcnt vmcnt(1)
	v_and_b32_e32 v2, v23, v25
	v_and_b32_e32 v22, v22, v24
	v_mul_lo_u32 v2, v2, 24
	v_mul_hi_u32 v23, v22, 24
	v_mul_lo_u32 v22, v22, 24
	v_add_nc_u32_e32 v2, v23, v2
	s_waitcnt vmcnt(0)
	v_add_co_u32 v22, vcc_lo, v26, v22
	v_add_co_ci_u32_e32 v23, vcc_lo, v27, v2, vcc_lo
	global_load_dwordx2 v[22:23], v[22:23], off glc dlc
	s_waitcnt vmcnt(0)
	global_atomic_cmpswap_x2 v[26:27], v3, v[22:25], s[6:7] offset:24 glc
	s_waitcnt vmcnt(0)
	buffer_gl1_inv
	buffer_gl0_inv
	v_cmpx_ne_u64_e64 v[26:27], v[24:25]
	s_cbranch_execz .LBB1_84
; %bb.81:                               ;   in Loop: Header=BB1_30 Depth=1
	s_mov_b32 s15, 0
	.p2align	6
.LBB1_82:                               ;   Parent Loop BB1_30 Depth=1
                                        ; =>  This Inner Loop Header: Depth=2
	s_sleep 1
	s_clause 0x1
	global_load_dwordx2 v[22:23], v3, s[6:7] offset:40
	global_load_dwordx2 v[30:31], v3, s[6:7]
	v_mov_b32_e32 v24, v26
	v_mov_b32_e32 v25, v27
	s_waitcnt vmcnt(1)
	v_and_b32_e32 v2, v22, v24
	v_and_b32_e32 v22, v23, v25
	s_waitcnt vmcnt(0)
	v_mad_u64_u32 v[26:27], null, v2, 24, v[30:31]
	v_mov_b32_e32 v2, v27
	v_mad_u64_u32 v[22:23], null, v22, 24, v[2:3]
	v_mov_b32_e32 v27, v22
	global_load_dwordx2 v[22:23], v[26:27], off glc dlc
	s_waitcnt vmcnt(0)
	global_atomic_cmpswap_x2 v[26:27], v3, v[22:25], s[6:7] offset:24 glc
	s_waitcnt vmcnt(0)
	buffer_gl1_inv
	buffer_gl0_inv
	v_cmp_eq_u64_e32 vcc_lo, v[26:27], v[24:25]
	s_or_b32 s15, vcc_lo, s15
	s_andn2_b32 exec_lo, exec_lo, s15
	s_cbranch_execnz .LBB1_82
; %bb.83:                               ;   in Loop: Header=BB1_30 Depth=1
	s_or_b32 exec_lo, exec_lo, s15
.LBB1_84:                               ;   in Loop: Header=BB1_30 Depth=1
	s_or_b32 exec_lo, exec_lo, s14
.LBB1_85:                               ;   in Loop: Header=BB1_30 Depth=1
	s_or_b32 exec_lo, exec_lo, s5
	s_clause 0x1
	global_load_dwordx2 v[30:31], v3, s[6:7] offset:40
	global_load_dwordx4 v[22:25], v3, s[6:7]
	v_readfirstlane_b32 s14, v26
	v_readfirstlane_b32 s15, v27
	s_mov_b32 s5, exec_lo
	s_waitcnt vmcnt(1)
	v_readfirstlane_b32 s16, v30
	v_readfirstlane_b32 s17, v31
	s_and_b64 s[16:17], s[14:15], s[16:17]
	s_mul_i32 s19, s17, 24
	s_mul_hi_u32 s20, s16, 24
	s_mul_i32 s21, s16, 24
	s_add_i32 s20, s20, s19
	s_waitcnt vmcnt(0)
	v_add_co_u32 v26, vcc_lo, v22, s21
	v_add_co_ci_u32_e32 v27, vcc_lo, s20, v23, vcc_lo
	s_and_saveexec_b32 s19, s4
	s_cbranch_execz .LBB1_87
; %bb.86:                               ;   in Loop: Header=BB1_30 Depth=1
	v_mov_b32_e32 v2, s5
	global_store_dwordx4 v[26:27], v[2:5], off offset:8
.LBB1_87:                               ;   in Loop: Header=BB1_30 Depth=1
	s_or_b32 exec_lo, exec_lo, s19
	s_lshl_b64 s[16:17], s[16:17], 12
	v_or_b32_e32 v2, 2, v6
	v_add_co_u32 v24, vcc_lo, v24, s16
	v_add_co_ci_u32_e32 v25, vcc_lo, s17, v25, vcc_lo
	v_cmp_gt_u64_e64 vcc_lo, s[10:11], 56
	s_lshl_b32 s5, s12, 2
	v_readfirstlane_b32 s16, v24
	s_add_i32 s5, s5, 28
	v_readfirstlane_b32 s17, v25
	s_and_b32 s5, s5, 0x1e0
	v_cndmask_b32_e32 v2, v2, v6, vcc_lo
	v_and_or_b32 v6, 0xffffff1f, v2, s5
	global_store_dwordx4 v29, v[10:13], s[16:17] offset:16
	global_store_dwordx4 v29, v[6:9], s[16:17]
	global_store_dwordx4 v29, v[14:17], s[16:17] offset:32
	global_store_dwordx4 v29, v[18:21], s[16:17] offset:48
	s_and_saveexec_b32 s5, s4
	s_cbranch_execz .LBB1_95
; %bb.88:                               ;   in Loop: Header=BB1_30 Depth=1
	s_clause 0x1
	global_load_dwordx2 v[14:15], v3, s[6:7] offset:32 glc dlc
	global_load_dwordx2 v[6:7], v3, s[6:7] offset:40
	v_mov_b32_e32 v12, s14
	v_mov_b32_e32 v13, s15
	s_waitcnt vmcnt(0)
	v_readfirstlane_b32 s16, v6
	v_readfirstlane_b32 s17, v7
	s_and_b64 s[16:17], s[16:17], s[14:15]
	s_mul_i32 s17, s17, 24
	s_mul_hi_u32 s19, s16, 24
	s_mul_i32 s16, s16, 24
	s_add_i32 s19, s19, s17
	v_add_co_u32 v10, vcc_lo, v22, s16
	v_add_co_ci_u32_e32 v11, vcc_lo, s19, v23, vcc_lo
	s_mov_b32 s16, exec_lo
	global_store_dwordx2 v[10:11], v[14:15], off
	s_waitcnt_vscnt null, 0x0
	global_atomic_cmpswap_x2 v[8:9], v3, v[12:15], s[6:7] offset:32 glc
	s_waitcnt vmcnt(0)
	v_cmpx_ne_u64_e64 v[8:9], v[14:15]
	s_cbranch_execz .LBB1_91
; %bb.89:                               ;   in Loop: Header=BB1_30 Depth=1
	s_mov_b32 s17, 0
.LBB1_90:                               ;   Parent Loop BB1_30 Depth=1
                                        ; =>  This Inner Loop Header: Depth=2
	v_mov_b32_e32 v6, s14
	v_mov_b32_e32 v7, s15
	s_sleep 1
	global_store_dwordx2 v[10:11], v[8:9], off
	s_waitcnt_vscnt null, 0x0
	global_atomic_cmpswap_x2 v[6:7], v3, v[6:9], s[6:7] offset:32 glc
	s_waitcnt vmcnt(0)
	v_cmp_eq_u64_e32 vcc_lo, v[6:7], v[8:9]
	v_mov_b32_e32 v9, v7
	v_mov_b32_e32 v8, v6
	s_or_b32 s17, vcc_lo, s17
	s_andn2_b32 exec_lo, exec_lo, s17
	s_cbranch_execnz .LBB1_90
.LBB1_91:                               ;   in Loop: Header=BB1_30 Depth=1
	s_or_b32 exec_lo, exec_lo, s16
	global_load_dwordx2 v[6:7], v3, s[6:7] offset:16
	s_mov_b32 s17, exec_lo
	s_mov_b32 s16, exec_lo
	v_mbcnt_lo_u32_b32 v2, s17, 0
	v_cmpx_eq_u32_e32 0, v2
	s_cbranch_execz .LBB1_93
; %bb.92:                               ;   in Loop: Header=BB1_30 Depth=1
	s_bcnt1_i32_b32 s17, s17
	v_mov_b32_e32 v2, s17
	s_waitcnt vmcnt(0)
	global_atomic_add_x2 v[6:7], v[2:3], off offset:8
.LBB1_93:                               ;   in Loop: Header=BB1_30 Depth=1
	s_or_b32 exec_lo, exec_lo, s16
	s_waitcnt vmcnt(0)
	global_load_dwordx2 v[8:9], v[6:7], off offset:16
	s_waitcnt vmcnt(0)
	v_cmp_eq_u64_e32 vcc_lo, 0, v[8:9]
	s_cbranch_vccnz .LBB1_95
; %bb.94:                               ;   in Loop: Header=BB1_30 Depth=1
	global_load_dword v2, v[6:7], off offset:24
	s_waitcnt vmcnt(0)
	v_and_b32_e32 v6, 0x7fffff, v2
	s_waitcnt_vscnt null, 0x0
	global_store_dwordx2 v[8:9], v[2:3], off
	v_readfirstlane_b32 m0, v6
	s_sendmsg sendmsg(MSG_INTERRUPT)
.LBB1_95:                               ;   in Loop: Header=BB1_30 Depth=1
	s_or_b32 exec_lo, exec_lo, s5
	v_add_co_u32 v6, vcc_lo, v24, v29
	v_add_co_ci_u32_e32 v7, vcc_lo, 0, v25, vcc_lo
	s_branch .LBB1_99
	.p2align	6
.LBB1_96:                               ;   in Loop: Header=BB1_99 Depth=2
	s_or_b32 exec_lo, exec_lo, s5
	v_readfirstlane_b32 s5, v2
	s_cmp_eq_u32 s5, 0
	s_cbranch_scc1 .LBB1_98
; %bb.97:                               ;   in Loop: Header=BB1_99 Depth=2
	s_sleep 1
	s_cbranch_execnz .LBB1_99
	s_branch .LBB1_101
	.p2align	6
.LBB1_98:                               ;   in Loop: Header=BB1_30 Depth=1
	s_branch .LBB1_101
.LBB1_99:                               ;   Parent Loop BB1_30 Depth=1
                                        ; =>  This Inner Loop Header: Depth=2
	v_mov_b32_e32 v2, 1
	s_and_saveexec_b32 s5, s4
	s_cbranch_execz .LBB1_96
; %bb.100:                              ;   in Loop: Header=BB1_99 Depth=2
	global_load_dword v2, v[26:27], off offset:20 glc dlc
	s_waitcnt vmcnt(0)
	buffer_gl1_inv
	buffer_gl0_inv
	v_and_b32_e32 v2, 1, v2
	s_branch .LBB1_96
.LBB1_101:                              ;   in Loop: Header=BB1_30 Depth=1
	global_load_dwordx4 v[6:9], v[6:7], off
	s_and_saveexec_b32 s5, s4
	s_cbranch_execz .LBB1_29
; %bb.102:                              ;   in Loop: Header=BB1_30 Depth=1
	s_clause 0x2
	global_load_dwordx2 v[10:11], v3, s[6:7] offset:40
	global_load_dwordx2 v[14:15], v3, s[6:7] offset:24 glc dlc
	global_load_dwordx2 v[12:13], v3, s[6:7]
	s_waitcnt vmcnt(2)
	v_add_co_u32 v2, vcc_lo, v10, 1
	v_add_co_ci_u32_e32 v16, vcc_lo, 0, v11, vcc_lo
	v_add_co_u32 v8, vcc_lo, v2, s14
	v_add_co_ci_u32_e32 v9, vcc_lo, s15, v16, vcc_lo
	v_cmp_eq_u64_e32 vcc_lo, 0, v[8:9]
	v_cndmask_b32_e32 v9, v9, v16, vcc_lo
	v_cndmask_b32_e32 v8, v8, v2, vcc_lo
	v_and_b32_e32 v2, v9, v11
	v_and_b32_e32 v10, v8, v10
	v_mul_lo_u32 v2, v2, 24
	v_mul_hi_u32 v11, v10, 24
	v_mul_lo_u32 v10, v10, 24
	v_add_nc_u32_e32 v2, v11, v2
	s_waitcnt vmcnt(0)
	v_add_co_u32 v12, vcc_lo, v12, v10
	v_mov_b32_e32 v10, v14
	v_mov_b32_e32 v11, v15
	v_add_co_ci_u32_e32 v13, vcc_lo, v13, v2, vcc_lo
	global_store_dwordx2 v[12:13], v[14:15], off
	s_waitcnt_vscnt null, 0x0
	global_atomic_cmpswap_x2 v[10:11], v3, v[8:11], s[6:7] offset:24 glc
	s_waitcnt vmcnt(0)
	v_cmp_ne_u64_e32 vcc_lo, v[10:11], v[14:15]
	s_and_b32 exec_lo, exec_lo, vcc_lo
	s_cbranch_execz .LBB1_29
; %bb.103:                              ;   in Loop: Header=BB1_30 Depth=1
	s_mov_b32 s4, 0
.LBB1_104:                              ;   Parent Loop BB1_30 Depth=1
                                        ; =>  This Inner Loop Header: Depth=2
	s_sleep 1
	global_store_dwordx2 v[12:13], v[10:11], off
	s_waitcnt_vscnt null, 0x0
	global_atomic_cmpswap_x2 v[14:15], v3, v[8:11], s[6:7] offset:24 glc
	s_waitcnt vmcnt(0)
	v_cmp_eq_u64_e32 vcc_lo, v[14:15], v[10:11]
	v_mov_b32_e32 v10, v14
	v_mov_b32_e32 v11, v15
	s_or_b32 s4, vcc_lo, s4
	s_andn2_b32 exec_lo, exec_lo, s4
	s_cbranch_execnz .LBB1_104
	s_branch .LBB1_29
.LBB1_105:
.LBB1_106:
	s_andn2_saveexec_b32 s18, s18
	s_cbranch_execz .LBB1_212
.LBB1_107:
	v_readfirstlane_b32 s4, v28
	s_waitcnt vmcnt(0)
	v_mov_b32_e32 v6, 0
	v_mov_b32_e32 v7, 0
	v_cmp_eq_u32_e64 s4, s4, v28
	s_and_saveexec_b32 s5, s4
	s_cbranch_execz .LBB1_113
; %bb.108:
	v_mov_b32_e32 v0, 0
	s_mov_b32 s8, exec_lo
	s_waitcnt lgkmcnt(0)
	global_load_dwordx2 v[3:4], v0, s[6:7] offset:24 glc dlc
	s_waitcnt vmcnt(0)
	buffer_gl1_inv
	buffer_gl0_inv
	s_clause 0x1
	global_load_dwordx2 v[1:2], v0, s[6:7] offset:40
	global_load_dwordx2 v[5:6], v0, s[6:7]
	s_waitcnt vmcnt(1)
	v_and_b32_e32 v2, v2, v4
	v_and_b32_e32 v1, v1, v3
	v_mul_lo_u32 v2, v2, 24
	v_mul_hi_u32 v7, v1, 24
	v_mul_lo_u32 v1, v1, 24
	v_add_nc_u32_e32 v2, v7, v2
	s_waitcnt vmcnt(0)
	v_add_co_u32 v1, vcc_lo, v5, v1
	v_add_co_ci_u32_e32 v2, vcc_lo, v6, v2, vcc_lo
	global_load_dwordx2 v[1:2], v[1:2], off glc dlc
	s_waitcnt vmcnt(0)
	global_atomic_cmpswap_x2 v[6:7], v0, v[1:4], s[6:7] offset:24 glc
	s_waitcnt vmcnt(0)
	buffer_gl1_inv
	buffer_gl0_inv
	v_cmpx_ne_u64_e64 v[6:7], v[3:4]
	s_cbranch_execz .LBB1_112
; %bb.109:
	s_mov_b32 s9, 0
	.p2align	6
.LBB1_110:                              ; =>This Inner Loop Header: Depth=1
	s_sleep 1
	s_clause 0x1
	global_load_dwordx2 v[1:2], v0, s[6:7] offset:40
	global_load_dwordx2 v[8:9], v0, s[6:7]
	v_mov_b32_e32 v3, v6
	v_mov_b32_e32 v4, v7
	s_waitcnt vmcnt(1)
	v_and_b32_e32 v1, v1, v3
	v_and_b32_e32 v2, v2, v4
	s_waitcnt vmcnt(0)
	v_mad_u64_u32 v[5:6], null, v1, 24, v[8:9]
	v_mov_b32_e32 v1, v6
	v_mad_u64_u32 v[1:2], null, v2, 24, v[1:2]
	v_mov_b32_e32 v6, v1
	global_load_dwordx2 v[1:2], v[5:6], off glc dlc
	s_waitcnt vmcnt(0)
	global_atomic_cmpswap_x2 v[6:7], v0, v[1:4], s[6:7] offset:24 glc
	s_waitcnt vmcnt(0)
	buffer_gl1_inv
	buffer_gl0_inv
	v_cmp_eq_u64_e32 vcc_lo, v[6:7], v[3:4]
	s_or_b32 s9, vcc_lo, s9
	s_andn2_b32 exec_lo, exec_lo, s9
	s_cbranch_execnz .LBB1_110
; %bb.111:
	s_or_b32 exec_lo, exec_lo, s9
.LBB1_112:
	s_or_b32 exec_lo, exec_lo, s8
.LBB1_113:
	s_or_b32 exec_lo, exec_lo, s5
	v_mov_b32_e32 v5, 0
	v_readfirstlane_b32 s8, v6
	v_readfirstlane_b32 s9, v7
	s_mov_b32 s5, exec_lo
	s_waitcnt lgkmcnt(0)
	s_clause 0x1
	global_load_dwordx2 v[8:9], v5, s[6:7] offset:40
	global_load_dwordx4 v[0:3], v5, s[6:7]
	s_waitcnt vmcnt(1)
	v_readfirstlane_b32 s10, v8
	v_readfirstlane_b32 s11, v9
	s_and_b64 s[10:11], s[8:9], s[10:11]
	s_mul_i32 s12, s11, 24
	s_mul_hi_u32 s13, s10, 24
	s_mul_i32 s14, s10, 24
	s_add_i32 s13, s13, s12
	s_waitcnt vmcnt(0)
	v_add_co_u32 v8, vcc_lo, v0, s14
	v_add_co_ci_u32_e32 v9, vcc_lo, s13, v1, vcc_lo
	s_and_saveexec_b32 s12, s4
	s_cbranch_execz .LBB1_115
; %bb.114:
	v_mov_b32_e32 v4, s5
	v_mov_b32_e32 v6, 2
	;; [unrolled: 1-line block ×3, first 2 shown]
	global_store_dwordx4 v[8:9], v[4:7], off offset:8
.LBB1_115:
	s_or_b32 exec_lo, exec_lo, s12
	s_lshl_b64 s[10:11], s[10:11], 12
	v_lshlrev_b32_e32 v29, 6, v28
	v_add_co_u32 v2, vcc_lo, v2, s10
	v_add_co_ci_u32_e32 v3, vcc_lo, s11, v3, vcc_lo
	s_mov_b32 s12, 0
	v_add_co_u32 v10, vcc_lo, v2, v29
	s_mov_b32 s13, s12
	s_mov_b32 s14, s12
	;; [unrolled: 1-line block ×3, first 2 shown]
	v_mov_b32_e32 v4, 33
	v_mov_b32_e32 v6, v5
	;; [unrolled: 1-line block ×3, first 2 shown]
	v_readfirstlane_b32 s10, v2
	v_readfirstlane_b32 s11, v3
	v_mov_b32_e32 v12, s12
	v_add_co_ci_u32_e32 v11, vcc_lo, 0, v3, vcc_lo
	v_mov_b32_e32 v13, s13
	v_mov_b32_e32 v14, s14
	;; [unrolled: 1-line block ×3, first 2 shown]
	global_store_dwordx4 v29, v[4:7], s[10:11]
	global_store_dwordx4 v29, v[12:15], s[10:11] offset:16
	global_store_dwordx4 v29, v[12:15], s[10:11] offset:32
	;; [unrolled: 1-line block ×3, first 2 shown]
	s_and_saveexec_b32 s5, s4
	s_cbranch_execz .LBB1_123
; %bb.116:
	v_mov_b32_e32 v6, 0
	v_mov_b32_e32 v12, s8
	;; [unrolled: 1-line block ×3, first 2 shown]
	s_mov_b32 s10, exec_lo
	s_clause 0x1
	global_load_dwordx2 v[14:15], v6, s[6:7] offset:32 glc dlc
	global_load_dwordx2 v[2:3], v6, s[6:7] offset:40
	s_waitcnt vmcnt(0)
	v_and_b32_e32 v3, s9, v3
	v_and_b32_e32 v2, s8, v2
	v_mul_lo_u32 v3, v3, 24
	v_mul_hi_u32 v4, v2, 24
	v_mul_lo_u32 v2, v2, 24
	v_add_nc_u32_e32 v3, v4, v3
	v_add_co_u32 v4, vcc_lo, v0, v2
	v_add_co_ci_u32_e32 v5, vcc_lo, v1, v3, vcc_lo
	global_store_dwordx2 v[4:5], v[14:15], off
	s_waitcnt_vscnt null, 0x0
	global_atomic_cmpswap_x2 v[2:3], v6, v[12:15], s[6:7] offset:32 glc
	s_waitcnt vmcnt(0)
	v_cmpx_ne_u64_e64 v[2:3], v[14:15]
	s_cbranch_execz .LBB1_119
; %bb.117:
	s_mov_b32 s11, 0
.LBB1_118:                              ; =>This Inner Loop Header: Depth=1
	v_mov_b32_e32 v0, s8
	v_mov_b32_e32 v1, s9
	s_sleep 1
	global_store_dwordx2 v[4:5], v[2:3], off
	s_waitcnt_vscnt null, 0x0
	global_atomic_cmpswap_x2 v[0:1], v6, v[0:3], s[6:7] offset:32 glc
	s_waitcnt vmcnt(0)
	v_cmp_eq_u64_e32 vcc_lo, v[0:1], v[2:3]
	v_mov_b32_e32 v3, v1
	v_mov_b32_e32 v2, v0
	s_or_b32 s11, vcc_lo, s11
	s_andn2_b32 exec_lo, exec_lo, s11
	s_cbranch_execnz .LBB1_118
.LBB1_119:
	s_or_b32 exec_lo, exec_lo, s10
	v_mov_b32_e32 v3, 0
	s_mov_b32 s11, exec_lo
	s_mov_b32 s10, exec_lo
	v_mbcnt_lo_u32_b32 v2, s11, 0
	global_load_dwordx2 v[0:1], v3, s[6:7] offset:16
	v_cmpx_eq_u32_e32 0, v2
	s_cbranch_execz .LBB1_121
; %bb.120:
	s_bcnt1_i32_b32 s11, s11
	v_mov_b32_e32 v2, s11
	s_waitcnt vmcnt(0)
	global_atomic_add_x2 v[0:1], v[2:3], off offset:8
.LBB1_121:
	s_or_b32 exec_lo, exec_lo, s10
	s_waitcnt vmcnt(0)
	global_load_dwordx2 v[2:3], v[0:1], off offset:16
	s_waitcnt vmcnt(0)
	v_cmp_eq_u64_e32 vcc_lo, 0, v[2:3]
	s_cbranch_vccnz .LBB1_123
; %bb.122:
	global_load_dword v0, v[0:1], off offset:24
	v_mov_b32_e32 v1, 0
	s_waitcnt vmcnt(0)
	v_and_b32_e32 v4, 0x7fffff, v0
	s_waitcnt_vscnt null, 0x0
	global_store_dwordx2 v[2:3], v[0:1], off
	v_readfirstlane_b32 m0, v4
	s_sendmsg sendmsg(MSG_INTERRUPT)
.LBB1_123:
	s_or_b32 exec_lo, exec_lo, s5
	s_branch .LBB1_127
	.p2align	6
.LBB1_124:                              ;   in Loop: Header=BB1_127 Depth=1
	s_or_b32 exec_lo, exec_lo, s5
	v_readfirstlane_b32 s5, v0
	s_cmp_eq_u32 s5, 0
	s_cbranch_scc1 .LBB1_126
; %bb.125:                              ;   in Loop: Header=BB1_127 Depth=1
	s_sleep 1
	s_cbranch_execnz .LBB1_127
	s_branch .LBB1_129
	.p2align	6
.LBB1_126:
	s_branch .LBB1_129
.LBB1_127:                              ; =>This Inner Loop Header: Depth=1
	v_mov_b32_e32 v0, 1
	s_and_saveexec_b32 s5, s4
	s_cbranch_execz .LBB1_124
; %bb.128:                              ;   in Loop: Header=BB1_127 Depth=1
	global_load_dword v0, v[8:9], off offset:20 glc dlc
	s_waitcnt vmcnt(0)
	buffer_gl1_inv
	buffer_gl0_inv
	v_and_b32_e32 v0, 1, v0
	s_branch .LBB1_124
.LBB1_129:
	global_load_dwordx2 v[0:1], v[10:11], off
	s_and_saveexec_b32 s5, s4
	s_cbranch_execz .LBB1_133
; %bb.130:
	v_mov_b32_e32 v8, 0
	s_clause 0x2
	global_load_dwordx2 v[4:5], v8, s[6:7] offset:40
	global_load_dwordx2 v[9:10], v8, s[6:7] offset:24 glc dlc
	global_load_dwordx2 v[6:7], v8, s[6:7]
	s_waitcnt vmcnt(2)
	v_add_co_u32 v11, vcc_lo, v4, 1
	v_add_co_ci_u32_e32 v12, vcc_lo, 0, v5, vcc_lo
	v_add_co_u32 v2, vcc_lo, v11, s8
	v_add_co_ci_u32_e32 v3, vcc_lo, s9, v12, vcc_lo
	v_cmp_eq_u64_e32 vcc_lo, 0, v[2:3]
	v_cndmask_b32_e32 v3, v3, v12, vcc_lo
	v_cndmask_b32_e32 v2, v2, v11, vcc_lo
	v_and_b32_e32 v5, v3, v5
	v_and_b32_e32 v4, v2, v4
	v_mul_lo_u32 v5, v5, 24
	v_mul_hi_u32 v11, v4, 24
	v_mul_lo_u32 v4, v4, 24
	v_add_nc_u32_e32 v5, v11, v5
	s_waitcnt vmcnt(0)
	v_add_co_u32 v6, vcc_lo, v6, v4
	v_mov_b32_e32 v4, v9
	v_add_co_ci_u32_e32 v7, vcc_lo, v7, v5, vcc_lo
	v_mov_b32_e32 v5, v10
	global_store_dwordx2 v[6:7], v[9:10], off
	s_waitcnt_vscnt null, 0x0
	global_atomic_cmpswap_x2 v[4:5], v8, v[2:5], s[6:7] offset:24 glc
	s_waitcnt vmcnt(0)
	v_cmp_ne_u64_e32 vcc_lo, v[4:5], v[9:10]
	s_and_b32 exec_lo, exec_lo, vcc_lo
	s_cbranch_execz .LBB1_133
; %bb.131:
	s_mov_b32 s4, 0
.LBB1_132:                              ; =>This Inner Loop Header: Depth=1
	s_sleep 1
	global_store_dwordx2 v[6:7], v[4:5], off
	s_waitcnt_vscnt null, 0x0
	global_atomic_cmpswap_x2 v[9:10], v8, v[2:5], s[6:7] offset:24 glc
	s_waitcnt vmcnt(0)
	v_cmp_eq_u64_e32 vcc_lo, v[9:10], v[4:5]
	v_mov_b32_e32 v4, v9
	v_mov_b32_e32 v5, v10
	s_or_b32 s4, vcc_lo, s4
	s_andn2_b32 exec_lo, exec_lo, s4
	s_cbranch_execnz .LBB1_132
.LBB1_133:
	s_or_b32 exec_lo, exec_lo, s5
	s_getpc_b64 s[8:9]
	s_add_u32 s8, s8, .str.12@rel32@lo+4
	s_addc_u32 s9, s9, .str.12@rel32@hi+12
	s_cmp_lg_u64 s[8:9], 0
	s_cbranch_scc0 .LBB1_241
; %bb.134:
	s_waitcnt vmcnt(0)
	v_and_b32_e32 v6, -3, v0
	v_mov_b32_e32 v7, v1
	v_mov_b32_e32 v3, 0
	;; [unrolled: 1-line block ×4, first 2 shown]
	s_mov_b64 s[10:11], 6
	s_branch .LBB1_136
.LBB1_135:                              ;   in Loop: Header=BB1_136 Depth=1
	s_or_b32 exec_lo, exec_lo, s5
	s_sub_u32 s10, s10, s12
	s_subb_u32 s11, s11, s13
	s_add_u32 s8, s8, s12
	s_addc_u32 s9, s9, s13
	s_cmp_eq_u64 s[10:11], 0
	s_cbranch_scc1 .LBB1_211
.LBB1_136:                              ; =>This Loop Header: Depth=1
                                        ;     Child Loop BB1_145 Depth 2
                                        ;     Child Loop BB1_141 Depth 2
                                        ;     Child Loop BB1_153 Depth 2
                                        ;     Child Loop BB1_160 Depth 2
                                        ;     Child Loop BB1_167 Depth 2
                                        ;     Child Loop BB1_174 Depth 2
                                        ;     Child Loop BB1_181 Depth 2
                                        ;     Child Loop BB1_188 Depth 2
                                        ;     Child Loop BB1_196 Depth 2
                                        ;     Child Loop BB1_205 Depth 2
                                        ;     Child Loop BB1_210 Depth 2
	v_cmp_lt_u64_e64 s4, s[10:11], 56
	v_cmp_gt_u64_e64 s5, s[10:11], 7
                                        ; implicit-def: $sgpr19
	s_and_b32 s4, s4, exec_lo
	s_cselect_b32 s13, s11, 0
	s_cselect_b32 s12, s10, 56
	s_and_b32 vcc_lo, exec_lo, s5
	s_mov_b32 s4, -1
	s_cbranch_vccz .LBB1_143
; %bb.137:                              ;   in Loop: Header=BB1_136 Depth=1
	s_andn2_b32 vcc_lo, exec_lo, s4
	s_mov_b64 s[4:5], s[8:9]
	s_cbranch_vccz .LBB1_147
.LBB1_138:                              ;   in Loop: Header=BB1_136 Depth=1
	s_cmp_gt_u32 s19, 7
	s_cbranch_scc1 .LBB1_148
.LBB1_139:                              ;   in Loop: Header=BB1_136 Depth=1
	v_mov_b32_e32 v10, 0
	v_mov_b32_e32 v11, 0
	s_cmp_eq_u32 s19, 0
	s_cbranch_scc1 .LBB1_142
; %bb.140:                              ;   in Loop: Header=BB1_136 Depth=1
	s_mov_b64 s[14:15], 0
	s_mov_b64 s[16:17], 0
.LBB1_141:                              ;   Parent Loop BB1_136 Depth=1
                                        ; =>  This Inner Loop Header: Depth=2
	s_add_u32 s20, s4, s16
	s_addc_u32 s21, s5, s17
	s_add_u32 s16, s16, 1
	global_load_ubyte v2, v3, s[20:21]
	s_addc_u32 s17, s17, 0
	s_waitcnt vmcnt(0)
	v_and_b32_e32 v2, 0xffff, v2
	v_lshlrev_b64 v[12:13], s14, v[2:3]
	s_add_u32 s14, s14, 8
	s_addc_u32 s15, s15, 0
	s_cmp_lg_u32 s19, s16
	v_or_b32_e32 v10, v12, v10
	v_or_b32_e32 v11, v13, v11
	s_cbranch_scc1 .LBB1_141
.LBB1_142:                              ;   in Loop: Header=BB1_136 Depth=1
	s_mov_b32 s20, 0
	s_cbranch_execz .LBB1_149
	s_branch .LBB1_150
.LBB1_143:                              ;   in Loop: Header=BB1_136 Depth=1
	s_waitcnt vmcnt(0)
	v_mov_b32_e32 v8, 0
	v_mov_b32_e32 v9, 0
	s_cmp_eq_u64 s[10:11], 0
	s_mov_b64 s[4:5], 0
	s_cbranch_scc1 .LBB1_146
; %bb.144:                              ;   in Loop: Header=BB1_136 Depth=1
	v_mov_b32_e32 v8, 0
	v_mov_b32_e32 v9, 0
	s_lshl_b64 s[14:15], s[12:13], 3
	s_mov_b64 s[16:17], s[8:9]
.LBB1_145:                              ;   Parent Loop BB1_136 Depth=1
                                        ; =>  This Inner Loop Header: Depth=2
	global_load_ubyte v2, v3, s[16:17]
	s_waitcnt vmcnt(0)
	v_and_b32_e32 v2, 0xffff, v2
	v_lshlrev_b64 v[10:11], s4, v[2:3]
	s_add_u32 s4, s4, 8
	s_addc_u32 s5, s5, 0
	s_add_u32 s16, s16, 1
	s_addc_u32 s17, s17, 0
	s_cmp_lg_u32 s14, s4
	v_or_b32_e32 v8, v10, v8
	v_or_b32_e32 v9, v11, v9
	s_cbranch_scc1 .LBB1_145
.LBB1_146:                              ;   in Loop: Header=BB1_136 Depth=1
	s_mov_b32 s19, 0
	s_mov_b64 s[4:5], s[8:9]
	s_cbranch_execnz .LBB1_138
.LBB1_147:                              ;   in Loop: Header=BB1_136 Depth=1
	global_load_dwordx2 v[8:9], v3, s[8:9]
	s_add_i32 s19, s12, -8
	s_add_u32 s4, s8, 8
	s_addc_u32 s5, s9, 0
	s_cmp_gt_u32 s19, 7
	s_cbranch_scc0 .LBB1_139
.LBB1_148:                              ;   in Loop: Header=BB1_136 Depth=1
                                        ; implicit-def: $vgpr10_vgpr11
                                        ; implicit-def: $sgpr20
.LBB1_149:                              ;   in Loop: Header=BB1_136 Depth=1
	global_load_dwordx2 v[10:11], v3, s[4:5]
	s_add_i32 s20, s19, -8
	s_add_u32 s4, s4, 8
	s_addc_u32 s5, s5, 0
.LBB1_150:                              ;   in Loop: Header=BB1_136 Depth=1
	s_cmp_gt_u32 s20, 7
	s_cbranch_scc1 .LBB1_155
; %bb.151:                              ;   in Loop: Header=BB1_136 Depth=1
	v_mov_b32_e32 v12, 0
	v_mov_b32_e32 v13, 0
	s_cmp_eq_u32 s20, 0
	s_cbranch_scc1 .LBB1_154
; %bb.152:                              ;   in Loop: Header=BB1_136 Depth=1
	s_mov_b64 s[14:15], 0
	s_mov_b64 s[16:17], 0
.LBB1_153:                              ;   Parent Loop BB1_136 Depth=1
                                        ; =>  This Inner Loop Header: Depth=2
	s_add_u32 s22, s4, s16
	s_addc_u32 s23, s5, s17
	s_add_u32 s16, s16, 1
	global_load_ubyte v2, v3, s[22:23]
	s_addc_u32 s17, s17, 0
	s_waitcnt vmcnt(0)
	v_and_b32_e32 v2, 0xffff, v2
	v_lshlrev_b64 v[14:15], s14, v[2:3]
	s_add_u32 s14, s14, 8
	s_addc_u32 s15, s15, 0
	s_cmp_lg_u32 s20, s16
	v_or_b32_e32 v12, v14, v12
	v_or_b32_e32 v13, v15, v13
	s_cbranch_scc1 .LBB1_153
.LBB1_154:                              ;   in Loop: Header=BB1_136 Depth=1
	s_mov_b32 s19, 0
	s_cbranch_execz .LBB1_156
	s_branch .LBB1_157
.LBB1_155:                              ;   in Loop: Header=BB1_136 Depth=1
                                        ; implicit-def: $sgpr19
.LBB1_156:                              ;   in Loop: Header=BB1_136 Depth=1
	global_load_dwordx2 v[12:13], v3, s[4:5]
	s_add_i32 s19, s20, -8
	s_add_u32 s4, s4, 8
	s_addc_u32 s5, s5, 0
.LBB1_157:                              ;   in Loop: Header=BB1_136 Depth=1
	s_cmp_gt_u32 s19, 7
	s_cbranch_scc1 .LBB1_162
; %bb.158:                              ;   in Loop: Header=BB1_136 Depth=1
	v_mov_b32_e32 v14, 0
	v_mov_b32_e32 v15, 0
	s_cmp_eq_u32 s19, 0
	s_cbranch_scc1 .LBB1_161
; %bb.159:                              ;   in Loop: Header=BB1_136 Depth=1
	s_mov_b64 s[14:15], 0
	s_mov_b64 s[16:17], 0
.LBB1_160:                              ;   Parent Loop BB1_136 Depth=1
                                        ; =>  This Inner Loop Header: Depth=2
	s_add_u32 s20, s4, s16
	s_addc_u32 s21, s5, s17
	s_add_u32 s16, s16, 1
	global_load_ubyte v2, v3, s[20:21]
	s_addc_u32 s17, s17, 0
	s_waitcnt vmcnt(0)
	v_and_b32_e32 v2, 0xffff, v2
	v_lshlrev_b64 v[16:17], s14, v[2:3]
	s_add_u32 s14, s14, 8
	s_addc_u32 s15, s15, 0
	s_cmp_lg_u32 s19, s16
	v_or_b32_e32 v14, v16, v14
	v_or_b32_e32 v15, v17, v15
	s_cbranch_scc1 .LBB1_160
.LBB1_161:                              ;   in Loop: Header=BB1_136 Depth=1
	s_mov_b32 s20, 0
	s_cbranch_execz .LBB1_163
	s_branch .LBB1_164
.LBB1_162:                              ;   in Loop: Header=BB1_136 Depth=1
                                        ; implicit-def: $vgpr14_vgpr15
                                        ; implicit-def: $sgpr20
.LBB1_163:                              ;   in Loop: Header=BB1_136 Depth=1
	global_load_dwordx2 v[14:15], v3, s[4:5]
	s_add_i32 s20, s19, -8
	s_add_u32 s4, s4, 8
	s_addc_u32 s5, s5, 0
.LBB1_164:                              ;   in Loop: Header=BB1_136 Depth=1
	s_cmp_gt_u32 s20, 7
	s_cbranch_scc1 .LBB1_169
; %bb.165:                              ;   in Loop: Header=BB1_136 Depth=1
	v_mov_b32_e32 v16, 0
	v_mov_b32_e32 v17, 0
	s_cmp_eq_u32 s20, 0
	s_cbranch_scc1 .LBB1_168
; %bb.166:                              ;   in Loop: Header=BB1_136 Depth=1
	s_mov_b64 s[14:15], 0
	s_mov_b64 s[16:17], 0
.LBB1_167:                              ;   Parent Loop BB1_136 Depth=1
                                        ; =>  This Inner Loop Header: Depth=2
	s_add_u32 s22, s4, s16
	s_addc_u32 s23, s5, s17
	s_add_u32 s16, s16, 1
	global_load_ubyte v2, v3, s[22:23]
	s_addc_u32 s17, s17, 0
	s_waitcnt vmcnt(0)
	v_and_b32_e32 v2, 0xffff, v2
	v_lshlrev_b64 v[18:19], s14, v[2:3]
	s_add_u32 s14, s14, 8
	s_addc_u32 s15, s15, 0
	s_cmp_lg_u32 s20, s16
	v_or_b32_e32 v16, v18, v16
	v_or_b32_e32 v17, v19, v17
	s_cbranch_scc1 .LBB1_167
.LBB1_168:                              ;   in Loop: Header=BB1_136 Depth=1
	s_mov_b32 s19, 0
	s_cbranch_execz .LBB1_170
	s_branch .LBB1_171
.LBB1_169:                              ;   in Loop: Header=BB1_136 Depth=1
                                        ; implicit-def: $sgpr19
.LBB1_170:                              ;   in Loop: Header=BB1_136 Depth=1
	global_load_dwordx2 v[16:17], v3, s[4:5]
	s_add_i32 s19, s20, -8
	s_add_u32 s4, s4, 8
	s_addc_u32 s5, s5, 0
.LBB1_171:                              ;   in Loop: Header=BB1_136 Depth=1
	s_cmp_gt_u32 s19, 7
	s_cbranch_scc1 .LBB1_176
; %bb.172:                              ;   in Loop: Header=BB1_136 Depth=1
	v_mov_b32_e32 v18, 0
	v_mov_b32_e32 v19, 0
	s_cmp_eq_u32 s19, 0
	s_cbranch_scc1 .LBB1_175
; %bb.173:                              ;   in Loop: Header=BB1_136 Depth=1
	s_mov_b64 s[14:15], 0
	s_mov_b64 s[16:17], 0
.LBB1_174:                              ;   Parent Loop BB1_136 Depth=1
                                        ; =>  This Inner Loop Header: Depth=2
	s_add_u32 s20, s4, s16
	s_addc_u32 s21, s5, s17
	s_add_u32 s16, s16, 1
	global_load_ubyte v2, v3, s[20:21]
	s_addc_u32 s17, s17, 0
	s_waitcnt vmcnt(0)
	v_and_b32_e32 v2, 0xffff, v2
	v_lshlrev_b64 v[20:21], s14, v[2:3]
	s_add_u32 s14, s14, 8
	s_addc_u32 s15, s15, 0
	s_cmp_lg_u32 s19, s16
	v_or_b32_e32 v18, v20, v18
	v_or_b32_e32 v19, v21, v19
	s_cbranch_scc1 .LBB1_174
.LBB1_175:                              ;   in Loop: Header=BB1_136 Depth=1
	s_mov_b32 s20, 0
	s_cbranch_execz .LBB1_177
	s_branch .LBB1_178
.LBB1_176:                              ;   in Loop: Header=BB1_136 Depth=1
                                        ; implicit-def: $vgpr18_vgpr19
                                        ; implicit-def: $sgpr20
.LBB1_177:                              ;   in Loop: Header=BB1_136 Depth=1
	global_load_dwordx2 v[18:19], v3, s[4:5]
	s_add_i32 s20, s19, -8
	s_add_u32 s4, s4, 8
	s_addc_u32 s5, s5, 0
.LBB1_178:                              ;   in Loop: Header=BB1_136 Depth=1
	s_cmp_gt_u32 s20, 7
	s_cbranch_scc1 .LBB1_183
; %bb.179:                              ;   in Loop: Header=BB1_136 Depth=1
	v_mov_b32_e32 v20, 0
	v_mov_b32_e32 v21, 0
	s_cmp_eq_u32 s20, 0
	s_cbranch_scc1 .LBB1_182
; %bb.180:                              ;   in Loop: Header=BB1_136 Depth=1
	s_mov_b64 s[14:15], 0
	s_mov_b64 s[16:17], s[4:5]
.LBB1_181:                              ;   Parent Loop BB1_136 Depth=1
                                        ; =>  This Inner Loop Header: Depth=2
	global_load_ubyte v2, v3, s[16:17]
	s_add_i32 s20, s20, -1
	s_waitcnt vmcnt(0)
	v_and_b32_e32 v2, 0xffff, v2
	v_lshlrev_b64 v[22:23], s14, v[2:3]
	s_add_u32 s14, s14, 8
	s_addc_u32 s15, s15, 0
	s_add_u32 s16, s16, 1
	s_addc_u32 s17, s17, 0
	s_cmp_lg_u32 s20, 0
	v_or_b32_e32 v20, v22, v20
	v_or_b32_e32 v21, v23, v21
	s_cbranch_scc1 .LBB1_181
.LBB1_182:                              ;   in Loop: Header=BB1_136 Depth=1
	s_cbranch_execz .LBB1_184
	s_branch .LBB1_185
.LBB1_183:                              ;   in Loop: Header=BB1_136 Depth=1
.LBB1_184:                              ;   in Loop: Header=BB1_136 Depth=1
	global_load_dwordx2 v[20:21], v3, s[4:5]
.LBB1_185:                              ;   in Loop: Header=BB1_136 Depth=1
	v_readfirstlane_b32 s4, v28
	v_mov_b32_e32 v26, 0
	v_mov_b32_e32 v27, 0
	v_cmp_eq_u32_e64 s4, s4, v28
	s_and_saveexec_b32 s5, s4
	s_cbranch_execz .LBB1_191
; %bb.186:                              ;   in Loop: Header=BB1_136 Depth=1
	global_load_dwordx2 v[24:25], v3, s[6:7] offset:24 glc dlc
	s_waitcnt vmcnt(0)
	buffer_gl1_inv
	buffer_gl0_inv
	s_clause 0x1
	global_load_dwordx2 v[22:23], v3, s[6:7] offset:40
	global_load_dwordx2 v[26:27], v3, s[6:7]
	s_mov_b32 s14, exec_lo
	s_waitcnt vmcnt(1)
	v_and_b32_e32 v2, v23, v25
	v_and_b32_e32 v22, v22, v24
	v_mul_lo_u32 v2, v2, 24
	v_mul_hi_u32 v23, v22, 24
	v_mul_lo_u32 v22, v22, 24
	v_add_nc_u32_e32 v2, v23, v2
	s_waitcnt vmcnt(0)
	v_add_co_u32 v22, vcc_lo, v26, v22
	v_add_co_ci_u32_e32 v23, vcc_lo, v27, v2, vcc_lo
	global_load_dwordx2 v[22:23], v[22:23], off glc dlc
	s_waitcnt vmcnt(0)
	global_atomic_cmpswap_x2 v[26:27], v3, v[22:25], s[6:7] offset:24 glc
	s_waitcnt vmcnt(0)
	buffer_gl1_inv
	buffer_gl0_inv
	v_cmpx_ne_u64_e64 v[26:27], v[24:25]
	s_cbranch_execz .LBB1_190
; %bb.187:                              ;   in Loop: Header=BB1_136 Depth=1
	s_mov_b32 s15, 0
	.p2align	6
.LBB1_188:                              ;   Parent Loop BB1_136 Depth=1
                                        ; =>  This Inner Loop Header: Depth=2
	s_sleep 1
	s_clause 0x1
	global_load_dwordx2 v[22:23], v3, s[6:7] offset:40
	global_load_dwordx2 v[30:31], v3, s[6:7]
	v_mov_b32_e32 v24, v26
	v_mov_b32_e32 v25, v27
	s_waitcnt vmcnt(1)
	v_and_b32_e32 v2, v22, v24
	v_and_b32_e32 v22, v23, v25
	s_waitcnt vmcnt(0)
	v_mad_u64_u32 v[26:27], null, v2, 24, v[30:31]
	v_mov_b32_e32 v2, v27
	v_mad_u64_u32 v[22:23], null, v22, 24, v[2:3]
	v_mov_b32_e32 v27, v22
	global_load_dwordx2 v[22:23], v[26:27], off glc dlc
	s_waitcnt vmcnt(0)
	global_atomic_cmpswap_x2 v[26:27], v3, v[22:25], s[6:7] offset:24 glc
	s_waitcnt vmcnt(0)
	buffer_gl1_inv
	buffer_gl0_inv
	v_cmp_eq_u64_e32 vcc_lo, v[26:27], v[24:25]
	s_or_b32 s15, vcc_lo, s15
	s_andn2_b32 exec_lo, exec_lo, s15
	s_cbranch_execnz .LBB1_188
; %bb.189:                              ;   in Loop: Header=BB1_136 Depth=1
	s_or_b32 exec_lo, exec_lo, s15
.LBB1_190:                              ;   in Loop: Header=BB1_136 Depth=1
	s_or_b32 exec_lo, exec_lo, s14
.LBB1_191:                              ;   in Loop: Header=BB1_136 Depth=1
	s_or_b32 exec_lo, exec_lo, s5
	s_clause 0x1
	global_load_dwordx2 v[30:31], v3, s[6:7] offset:40
	global_load_dwordx4 v[22:25], v3, s[6:7]
	v_readfirstlane_b32 s14, v26
	v_readfirstlane_b32 s15, v27
	s_mov_b32 s5, exec_lo
	s_waitcnt vmcnt(1)
	v_readfirstlane_b32 s16, v30
	v_readfirstlane_b32 s17, v31
	s_and_b64 s[16:17], s[14:15], s[16:17]
	s_mul_i32 s19, s17, 24
	s_mul_hi_u32 s20, s16, 24
	s_mul_i32 s21, s16, 24
	s_add_i32 s20, s20, s19
	s_waitcnt vmcnt(0)
	v_add_co_u32 v26, vcc_lo, v22, s21
	v_add_co_ci_u32_e32 v27, vcc_lo, s20, v23, vcc_lo
	s_and_saveexec_b32 s19, s4
	s_cbranch_execz .LBB1_193
; %bb.192:                              ;   in Loop: Header=BB1_136 Depth=1
	v_mov_b32_e32 v2, s5
	global_store_dwordx4 v[26:27], v[2:5], off offset:8
.LBB1_193:                              ;   in Loop: Header=BB1_136 Depth=1
	s_or_b32 exec_lo, exec_lo, s19
	s_lshl_b64 s[16:17], s[16:17], 12
	v_or_b32_e32 v2, 2, v6
	v_add_co_u32 v24, vcc_lo, v24, s16
	v_add_co_ci_u32_e32 v25, vcc_lo, s17, v25, vcc_lo
	v_cmp_gt_u64_e64 vcc_lo, s[10:11], 56
	s_lshl_b32 s5, s12, 2
	v_readfirstlane_b32 s16, v24
	s_add_i32 s5, s5, 28
	v_readfirstlane_b32 s17, v25
	s_and_b32 s5, s5, 0x1e0
	v_cndmask_b32_e32 v2, v2, v6, vcc_lo
	v_and_or_b32 v6, 0xffffff1f, v2, s5
	global_store_dwordx4 v29, v[10:13], s[16:17] offset:16
	global_store_dwordx4 v29, v[6:9], s[16:17]
	global_store_dwordx4 v29, v[14:17], s[16:17] offset:32
	global_store_dwordx4 v29, v[18:21], s[16:17] offset:48
	s_and_saveexec_b32 s5, s4
	s_cbranch_execz .LBB1_201
; %bb.194:                              ;   in Loop: Header=BB1_136 Depth=1
	s_clause 0x1
	global_load_dwordx2 v[14:15], v3, s[6:7] offset:32 glc dlc
	global_load_dwordx2 v[6:7], v3, s[6:7] offset:40
	v_mov_b32_e32 v12, s14
	v_mov_b32_e32 v13, s15
	s_waitcnt vmcnt(0)
	v_readfirstlane_b32 s16, v6
	v_readfirstlane_b32 s17, v7
	s_and_b64 s[16:17], s[16:17], s[14:15]
	s_mul_i32 s17, s17, 24
	s_mul_hi_u32 s19, s16, 24
	s_mul_i32 s16, s16, 24
	s_add_i32 s19, s19, s17
	v_add_co_u32 v10, vcc_lo, v22, s16
	v_add_co_ci_u32_e32 v11, vcc_lo, s19, v23, vcc_lo
	s_mov_b32 s16, exec_lo
	global_store_dwordx2 v[10:11], v[14:15], off
	s_waitcnt_vscnt null, 0x0
	global_atomic_cmpswap_x2 v[8:9], v3, v[12:15], s[6:7] offset:32 glc
	s_waitcnt vmcnt(0)
	v_cmpx_ne_u64_e64 v[8:9], v[14:15]
	s_cbranch_execz .LBB1_197
; %bb.195:                              ;   in Loop: Header=BB1_136 Depth=1
	s_mov_b32 s17, 0
.LBB1_196:                              ;   Parent Loop BB1_136 Depth=1
                                        ; =>  This Inner Loop Header: Depth=2
	v_mov_b32_e32 v6, s14
	v_mov_b32_e32 v7, s15
	s_sleep 1
	global_store_dwordx2 v[10:11], v[8:9], off
	s_waitcnt_vscnt null, 0x0
	global_atomic_cmpswap_x2 v[6:7], v3, v[6:9], s[6:7] offset:32 glc
	s_waitcnt vmcnt(0)
	v_cmp_eq_u64_e32 vcc_lo, v[6:7], v[8:9]
	v_mov_b32_e32 v9, v7
	v_mov_b32_e32 v8, v6
	s_or_b32 s17, vcc_lo, s17
	s_andn2_b32 exec_lo, exec_lo, s17
	s_cbranch_execnz .LBB1_196
.LBB1_197:                              ;   in Loop: Header=BB1_136 Depth=1
	s_or_b32 exec_lo, exec_lo, s16
	global_load_dwordx2 v[6:7], v3, s[6:7] offset:16
	s_mov_b32 s17, exec_lo
	s_mov_b32 s16, exec_lo
	v_mbcnt_lo_u32_b32 v2, s17, 0
	v_cmpx_eq_u32_e32 0, v2
	s_cbranch_execz .LBB1_199
; %bb.198:                              ;   in Loop: Header=BB1_136 Depth=1
	s_bcnt1_i32_b32 s17, s17
	v_mov_b32_e32 v2, s17
	s_waitcnt vmcnt(0)
	global_atomic_add_x2 v[6:7], v[2:3], off offset:8
.LBB1_199:                              ;   in Loop: Header=BB1_136 Depth=1
	s_or_b32 exec_lo, exec_lo, s16
	s_waitcnt vmcnt(0)
	global_load_dwordx2 v[8:9], v[6:7], off offset:16
	s_waitcnt vmcnt(0)
	v_cmp_eq_u64_e32 vcc_lo, 0, v[8:9]
	s_cbranch_vccnz .LBB1_201
; %bb.200:                              ;   in Loop: Header=BB1_136 Depth=1
	global_load_dword v2, v[6:7], off offset:24
	s_waitcnt vmcnt(0)
	v_and_b32_e32 v6, 0x7fffff, v2
	s_waitcnt_vscnt null, 0x0
	global_store_dwordx2 v[8:9], v[2:3], off
	v_readfirstlane_b32 m0, v6
	s_sendmsg sendmsg(MSG_INTERRUPT)
.LBB1_201:                              ;   in Loop: Header=BB1_136 Depth=1
	s_or_b32 exec_lo, exec_lo, s5
	v_add_co_u32 v6, vcc_lo, v24, v29
	v_add_co_ci_u32_e32 v7, vcc_lo, 0, v25, vcc_lo
	s_branch .LBB1_205
	.p2align	6
.LBB1_202:                              ;   in Loop: Header=BB1_205 Depth=2
	s_or_b32 exec_lo, exec_lo, s5
	v_readfirstlane_b32 s5, v2
	s_cmp_eq_u32 s5, 0
	s_cbranch_scc1 .LBB1_204
; %bb.203:                              ;   in Loop: Header=BB1_205 Depth=2
	s_sleep 1
	s_cbranch_execnz .LBB1_205
	s_branch .LBB1_207
	.p2align	6
.LBB1_204:                              ;   in Loop: Header=BB1_136 Depth=1
	s_branch .LBB1_207
.LBB1_205:                              ;   Parent Loop BB1_136 Depth=1
                                        ; =>  This Inner Loop Header: Depth=2
	v_mov_b32_e32 v2, 1
	s_and_saveexec_b32 s5, s4
	s_cbranch_execz .LBB1_202
; %bb.206:                              ;   in Loop: Header=BB1_205 Depth=2
	global_load_dword v2, v[26:27], off offset:20 glc dlc
	s_waitcnt vmcnt(0)
	buffer_gl1_inv
	buffer_gl0_inv
	v_and_b32_e32 v2, 1, v2
	s_branch .LBB1_202
.LBB1_207:                              ;   in Loop: Header=BB1_136 Depth=1
	global_load_dwordx4 v[6:9], v[6:7], off
	s_and_saveexec_b32 s5, s4
	s_cbranch_execz .LBB1_135
; %bb.208:                              ;   in Loop: Header=BB1_136 Depth=1
	s_clause 0x2
	global_load_dwordx2 v[10:11], v3, s[6:7] offset:40
	global_load_dwordx2 v[14:15], v3, s[6:7] offset:24 glc dlc
	global_load_dwordx2 v[12:13], v3, s[6:7]
	s_waitcnt vmcnt(2)
	v_add_co_u32 v2, vcc_lo, v10, 1
	v_add_co_ci_u32_e32 v16, vcc_lo, 0, v11, vcc_lo
	v_add_co_u32 v8, vcc_lo, v2, s14
	v_add_co_ci_u32_e32 v9, vcc_lo, s15, v16, vcc_lo
	v_cmp_eq_u64_e32 vcc_lo, 0, v[8:9]
	v_cndmask_b32_e32 v9, v9, v16, vcc_lo
	v_cndmask_b32_e32 v8, v8, v2, vcc_lo
	v_and_b32_e32 v2, v9, v11
	v_and_b32_e32 v10, v8, v10
	v_mul_lo_u32 v2, v2, 24
	v_mul_hi_u32 v11, v10, 24
	v_mul_lo_u32 v10, v10, 24
	v_add_nc_u32_e32 v2, v11, v2
	s_waitcnt vmcnt(0)
	v_add_co_u32 v12, vcc_lo, v12, v10
	v_mov_b32_e32 v10, v14
	v_mov_b32_e32 v11, v15
	v_add_co_ci_u32_e32 v13, vcc_lo, v13, v2, vcc_lo
	global_store_dwordx2 v[12:13], v[14:15], off
	s_waitcnt_vscnt null, 0x0
	global_atomic_cmpswap_x2 v[10:11], v3, v[8:11], s[6:7] offset:24 glc
	s_waitcnt vmcnt(0)
	v_cmp_ne_u64_e32 vcc_lo, v[10:11], v[14:15]
	s_and_b32 exec_lo, exec_lo, vcc_lo
	s_cbranch_execz .LBB1_135
; %bb.209:                              ;   in Loop: Header=BB1_136 Depth=1
	s_mov_b32 s4, 0
.LBB1_210:                              ;   Parent Loop BB1_136 Depth=1
                                        ; =>  This Inner Loop Header: Depth=2
	s_sleep 1
	global_store_dwordx2 v[12:13], v[10:11], off
	s_waitcnt_vscnt null, 0x0
	global_atomic_cmpswap_x2 v[14:15], v3, v[8:11], s[6:7] offset:24 glc
	s_waitcnt vmcnt(0)
	v_cmp_eq_u64_e32 vcc_lo, v[14:15], v[10:11]
	v_mov_b32_e32 v10, v14
	v_mov_b32_e32 v11, v15
	s_or_b32 s4, vcc_lo, s4
	s_andn2_b32 exec_lo, exec_lo, s4
	s_cbranch_execnz .LBB1_210
	s_branch .LBB1_135
.LBB1_211:
.LBB1_212:
	s_or_b32 exec_lo, exec_lo, s18
	s_waitcnt vmcnt(0) lgkmcnt(0)
	s_setpc_b64 s[30:31]
.LBB1_213:
	s_cbranch_execz .LBB1_106
; %bb.214:
	v_readfirstlane_b32 s4, v28
	s_waitcnt vmcnt(0)
	v_mov_b32_e32 v8, 0
	v_mov_b32_e32 v9, 0
	v_cmp_eq_u32_e64 s4, s4, v28
	s_and_saveexec_b32 s5, s4
	s_cbranch_execz .LBB1_220
; %bb.215:
	v_mov_b32_e32 v2, 0
	s_mov_b32 s8, exec_lo
	global_load_dwordx2 v[5:6], v2, s[6:7] offset:24 glc dlc
	s_waitcnt vmcnt(0)
	buffer_gl1_inv
	buffer_gl0_inv
	s_clause 0x1
	global_load_dwordx2 v[3:4], v2, s[6:7] offset:40
	global_load_dwordx2 v[7:8], v2, s[6:7]
	s_waitcnt vmcnt(1)
	v_and_b32_e32 v4, v4, v6
	v_and_b32_e32 v3, v3, v5
	v_mul_lo_u32 v4, v4, 24
	v_mul_hi_u32 v9, v3, 24
	v_mul_lo_u32 v3, v3, 24
	v_add_nc_u32_e32 v4, v9, v4
	s_waitcnt vmcnt(0)
	v_add_co_u32 v3, vcc_lo, v7, v3
	v_add_co_ci_u32_e32 v4, vcc_lo, v8, v4, vcc_lo
	global_load_dwordx2 v[3:4], v[3:4], off glc dlc
	s_waitcnt vmcnt(0)
	global_atomic_cmpswap_x2 v[8:9], v2, v[3:6], s[6:7] offset:24 glc
	s_waitcnt vmcnt(0)
	buffer_gl1_inv
	buffer_gl0_inv
	v_cmpx_ne_u64_e64 v[8:9], v[5:6]
	s_cbranch_execz .LBB1_219
; %bb.216:
	s_mov_b32 s9, 0
	.p2align	6
.LBB1_217:                              ; =>This Inner Loop Header: Depth=1
	s_sleep 1
	s_clause 0x1
	global_load_dwordx2 v[3:4], v2, s[6:7] offset:40
	global_load_dwordx2 v[10:11], v2, s[6:7]
	v_mov_b32_e32 v5, v8
	v_mov_b32_e32 v6, v9
	s_waitcnt vmcnt(1)
	v_and_b32_e32 v3, v3, v5
	v_and_b32_e32 v4, v4, v6
	s_waitcnt vmcnt(0)
	v_mad_u64_u32 v[7:8], null, v3, 24, v[10:11]
	v_mov_b32_e32 v3, v8
	v_mad_u64_u32 v[3:4], null, v4, 24, v[3:4]
	v_mov_b32_e32 v8, v3
	global_load_dwordx2 v[3:4], v[7:8], off glc dlc
	s_waitcnt vmcnt(0)
	global_atomic_cmpswap_x2 v[8:9], v2, v[3:6], s[6:7] offset:24 glc
	s_waitcnt vmcnt(0)
	buffer_gl1_inv
	buffer_gl0_inv
	v_cmp_eq_u64_e32 vcc_lo, v[8:9], v[5:6]
	s_or_b32 s9, vcc_lo, s9
	s_andn2_b32 exec_lo, exec_lo, s9
	s_cbranch_execnz .LBB1_217
; %bb.218:
	s_or_b32 exec_lo, exec_lo, s9
.LBB1_219:
	s_or_b32 exec_lo, exec_lo, s8
.LBB1_220:
	s_or_b32 exec_lo, exec_lo, s5
	v_mov_b32_e32 v2, 0
	v_readfirstlane_b32 s8, v8
	v_readfirstlane_b32 s9, v9
	s_mov_b32 s5, exec_lo
	s_clause 0x1
	global_load_dwordx2 v[10:11], v2, s[6:7] offset:40
	global_load_dwordx4 v[4:7], v2, s[6:7]
	s_waitcnt vmcnt(1)
	v_readfirstlane_b32 s10, v10
	v_readfirstlane_b32 s11, v11
	s_and_b64 s[10:11], s[8:9], s[10:11]
	s_mul_i32 s12, s11, 24
	s_mul_hi_u32 s13, s10, 24
	s_mul_i32 s14, s10, 24
	s_add_i32 s13, s13, s12
	s_waitcnt vmcnt(0)
	v_add_co_u32 v8, vcc_lo, v4, s14
	v_add_co_ci_u32_e32 v9, vcc_lo, s13, v5, vcc_lo
	s_and_saveexec_b32 s12, s4
	s_cbranch_execz .LBB1_222
; %bb.221:
	v_mov_b32_e32 v10, s5
	v_mov_b32_e32 v11, v2
	;; [unrolled: 1-line block ×4, first 2 shown]
	global_store_dwordx4 v[8:9], v[10:13], off offset:8
.LBB1_222:
	s_or_b32 exec_lo, exec_lo, s12
	s_lshl_b64 s[10:11], s[10:11], 12
	s_mov_b32 s12, 0
	v_add_co_u32 v6, vcc_lo, v6, s10
	v_add_co_ci_u32_e32 v7, vcc_lo, s11, v7, vcc_lo
	s_mov_b32 s13, s12
	s_mov_b32 s14, s12
	;; [unrolled: 1-line block ×3, first 2 shown]
	v_and_or_b32 v0, 0xffffff1d, v0, 34
	v_mov_b32_e32 v3, v2
	v_readfirstlane_b32 s10, v6
	v_readfirstlane_b32 s11, v7
	v_mov_b32_e32 v10, s12
	v_mov_b32_e32 v11, s13
	;; [unrolled: 1-line block ×4, first 2 shown]
	global_store_dwordx4 v29, v[0:3], s[10:11]
	global_store_dwordx4 v29, v[10:13], s[10:11] offset:16
	global_store_dwordx4 v29, v[10:13], s[10:11] offset:32
	;; [unrolled: 1-line block ×3, first 2 shown]
	s_and_saveexec_b32 s5, s4
	s_cbranch_execz .LBB1_230
; %bb.223:
	v_mov_b32_e32 v6, 0
	v_mov_b32_e32 v10, s8
	;; [unrolled: 1-line block ×3, first 2 shown]
	s_clause 0x1
	global_load_dwordx2 v[12:13], v6, s[6:7] offset:32 glc dlc
	global_load_dwordx2 v[0:1], v6, s[6:7] offset:40
	s_waitcnt vmcnt(0)
	v_readfirstlane_b32 s10, v0
	v_readfirstlane_b32 s11, v1
	s_and_b64 s[10:11], s[10:11], s[8:9]
	s_mul_i32 s11, s11, 24
	s_mul_hi_u32 s12, s10, 24
	s_mul_i32 s10, s10, 24
	s_add_i32 s12, s12, s11
	v_add_co_u32 v4, vcc_lo, v4, s10
	v_add_co_ci_u32_e32 v5, vcc_lo, s12, v5, vcc_lo
	s_mov_b32 s10, exec_lo
	global_store_dwordx2 v[4:5], v[12:13], off
	s_waitcnt_vscnt null, 0x0
	global_atomic_cmpswap_x2 v[2:3], v6, v[10:13], s[6:7] offset:32 glc
	s_waitcnt vmcnt(0)
	v_cmpx_ne_u64_e64 v[2:3], v[12:13]
	s_cbranch_execz .LBB1_226
; %bb.224:
	s_mov_b32 s11, 0
.LBB1_225:                              ; =>This Inner Loop Header: Depth=1
	v_mov_b32_e32 v0, s8
	v_mov_b32_e32 v1, s9
	s_sleep 1
	global_store_dwordx2 v[4:5], v[2:3], off
	s_waitcnt_vscnt null, 0x0
	global_atomic_cmpswap_x2 v[0:1], v6, v[0:3], s[6:7] offset:32 glc
	s_waitcnt vmcnt(0)
	v_cmp_eq_u64_e32 vcc_lo, v[0:1], v[2:3]
	v_mov_b32_e32 v3, v1
	v_mov_b32_e32 v2, v0
	s_or_b32 s11, vcc_lo, s11
	s_andn2_b32 exec_lo, exec_lo, s11
	s_cbranch_execnz .LBB1_225
.LBB1_226:
	s_or_b32 exec_lo, exec_lo, s10
	v_mov_b32_e32 v3, 0
	s_mov_b32 s11, exec_lo
	s_mov_b32 s10, exec_lo
	v_mbcnt_lo_u32_b32 v2, s11, 0
	global_load_dwordx2 v[0:1], v3, s[6:7] offset:16
	v_cmpx_eq_u32_e32 0, v2
	s_cbranch_execz .LBB1_228
; %bb.227:
	s_bcnt1_i32_b32 s11, s11
	v_mov_b32_e32 v2, s11
	s_waitcnt vmcnt(0)
	global_atomic_add_x2 v[0:1], v[2:3], off offset:8
.LBB1_228:
	s_or_b32 exec_lo, exec_lo, s10
	s_waitcnt vmcnt(0)
	global_load_dwordx2 v[2:3], v[0:1], off offset:16
	s_waitcnt vmcnt(0)
	v_cmp_eq_u64_e32 vcc_lo, 0, v[2:3]
	s_cbranch_vccnz .LBB1_230
; %bb.229:
	global_load_dword v0, v[0:1], off offset:24
	v_mov_b32_e32 v1, 0
	s_waitcnt vmcnt(0)
	v_and_b32_e32 v4, 0x7fffff, v0
	s_waitcnt_vscnt null, 0x0
	global_store_dwordx2 v[2:3], v[0:1], off
	v_readfirstlane_b32 m0, v4
	s_sendmsg sendmsg(MSG_INTERRUPT)
.LBB1_230:
	s_or_b32 exec_lo, exec_lo, s5
	s_branch .LBB1_234
	.p2align	6
.LBB1_231:                              ;   in Loop: Header=BB1_234 Depth=1
	s_or_b32 exec_lo, exec_lo, s5
	v_readfirstlane_b32 s5, v0
	s_cmp_eq_u32 s5, 0
	s_cbranch_scc1 .LBB1_233
; %bb.232:                              ;   in Loop: Header=BB1_234 Depth=1
	s_sleep 1
	s_cbranch_execnz .LBB1_234
	s_branch .LBB1_236
	.p2align	6
.LBB1_233:
	s_branch .LBB1_236
.LBB1_234:                              ; =>This Inner Loop Header: Depth=1
	v_mov_b32_e32 v0, 1
	s_and_saveexec_b32 s5, s4
	s_cbranch_execz .LBB1_231
; %bb.235:                              ;   in Loop: Header=BB1_234 Depth=1
	global_load_dword v0, v[8:9], off offset:20 glc dlc
	s_waitcnt vmcnt(0)
	buffer_gl1_inv
	buffer_gl0_inv
	v_and_b32_e32 v0, 1, v0
	s_branch .LBB1_231
.LBB1_236:
	s_and_saveexec_b32 s5, s4
	s_cbranch_execz .LBB1_240
; %bb.237:
	v_mov_b32_e32 v6, 0
	s_clause 0x2
	global_load_dwordx2 v[2:3], v6, s[6:7] offset:40
	global_load_dwordx2 v[7:8], v6, s[6:7] offset:24 glc dlc
	global_load_dwordx2 v[4:5], v6, s[6:7]
	s_waitcnt vmcnt(2)
	v_add_co_u32 v9, vcc_lo, v2, 1
	v_add_co_ci_u32_e32 v10, vcc_lo, 0, v3, vcc_lo
	v_add_co_u32 v0, vcc_lo, v9, s8
	v_add_co_ci_u32_e32 v1, vcc_lo, s9, v10, vcc_lo
	v_cmp_eq_u64_e32 vcc_lo, 0, v[0:1]
	v_cndmask_b32_e32 v1, v1, v10, vcc_lo
	v_cndmask_b32_e32 v0, v0, v9, vcc_lo
	v_and_b32_e32 v3, v1, v3
	v_and_b32_e32 v2, v0, v2
	v_mul_lo_u32 v3, v3, 24
	v_mul_hi_u32 v9, v2, 24
	v_mul_lo_u32 v2, v2, 24
	v_add_nc_u32_e32 v3, v9, v3
	s_waitcnt vmcnt(0)
	v_add_co_u32 v4, vcc_lo, v4, v2
	v_mov_b32_e32 v2, v7
	v_add_co_ci_u32_e32 v5, vcc_lo, v5, v3, vcc_lo
	v_mov_b32_e32 v3, v8
	global_store_dwordx2 v[4:5], v[7:8], off
	s_waitcnt_vscnt null, 0x0
	global_atomic_cmpswap_x2 v[2:3], v6, v[0:3], s[6:7] offset:24 glc
	s_waitcnt vmcnt(0)
	v_cmp_ne_u64_e32 vcc_lo, v[2:3], v[7:8]
	s_and_b32 exec_lo, exec_lo, vcc_lo
	s_cbranch_execz .LBB1_240
; %bb.238:
	s_mov_b32 s4, 0
.LBB1_239:                              ; =>This Inner Loop Header: Depth=1
	s_sleep 1
	global_store_dwordx2 v[4:5], v[2:3], off
	s_waitcnt_vscnt null, 0x0
	global_atomic_cmpswap_x2 v[7:8], v6, v[0:3], s[6:7] offset:24 glc
	s_waitcnt vmcnt(0)
	v_cmp_eq_u64_e32 vcc_lo, v[7:8], v[2:3]
	v_mov_b32_e32 v2, v7
	v_mov_b32_e32 v3, v8
	s_or_b32 s4, vcc_lo, s4
	s_andn2_b32 exec_lo, exec_lo, s4
	s_cbranch_execnz .LBB1_239
.LBB1_240:
	s_or_b32 exec_lo, exec_lo, s5
                                        ; implicit-def: $vgpr28
	s_andn2_saveexec_b32 s18, s18
	s_cbranch_execnz .LBB1_107
	s_branch .LBB1_212
.LBB1_241:
	s_cbranch_execz .LBB1_212
; %bb.242:
	v_readfirstlane_b32 s4, v28
	s_waitcnt vmcnt(0)
	v_mov_b32_e32 v8, 0
	v_mov_b32_e32 v9, 0
	v_cmp_eq_u32_e64 s4, s4, v28
	s_and_saveexec_b32 s5, s4
	s_cbranch_execz .LBB1_248
; %bb.243:
	v_mov_b32_e32 v2, 0
	s_mov_b32 s8, exec_lo
	global_load_dwordx2 v[5:6], v2, s[6:7] offset:24 glc dlc
	s_waitcnt vmcnt(0)
	buffer_gl1_inv
	buffer_gl0_inv
	s_clause 0x1
	global_load_dwordx2 v[3:4], v2, s[6:7] offset:40
	global_load_dwordx2 v[7:8], v2, s[6:7]
	s_waitcnt vmcnt(1)
	v_and_b32_e32 v4, v4, v6
	v_and_b32_e32 v3, v3, v5
	v_mul_lo_u32 v4, v4, 24
	v_mul_hi_u32 v9, v3, 24
	v_mul_lo_u32 v3, v3, 24
	v_add_nc_u32_e32 v4, v9, v4
	s_waitcnt vmcnt(0)
	v_add_co_u32 v3, vcc_lo, v7, v3
	v_add_co_ci_u32_e32 v4, vcc_lo, v8, v4, vcc_lo
	global_load_dwordx2 v[3:4], v[3:4], off glc dlc
	s_waitcnt vmcnt(0)
	global_atomic_cmpswap_x2 v[8:9], v2, v[3:6], s[6:7] offset:24 glc
	s_waitcnt vmcnt(0)
	buffer_gl1_inv
	buffer_gl0_inv
	v_cmpx_ne_u64_e64 v[8:9], v[5:6]
	s_cbranch_execz .LBB1_247
; %bb.244:
	s_mov_b32 s9, 0
	.p2align	6
.LBB1_245:                              ; =>This Inner Loop Header: Depth=1
	s_sleep 1
	s_clause 0x1
	global_load_dwordx2 v[3:4], v2, s[6:7] offset:40
	global_load_dwordx2 v[10:11], v2, s[6:7]
	v_mov_b32_e32 v5, v8
	v_mov_b32_e32 v6, v9
	s_waitcnt vmcnt(1)
	v_and_b32_e32 v3, v3, v5
	v_and_b32_e32 v4, v4, v6
	s_waitcnt vmcnt(0)
	v_mad_u64_u32 v[7:8], null, v3, 24, v[10:11]
	v_mov_b32_e32 v3, v8
	v_mad_u64_u32 v[3:4], null, v4, 24, v[3:4]
	v_mov_b32_e32 v8, v3
	global_load_dwordx2 v[3:4], v[7:8], off glc dlc
	s_waitcnt vmcnt(0)
	global_atomic_cmpswap_x2 v[8:9], v2, v[3:6], s[6:7] offset:24 glc
	s_waitcnt vmcnt(0)
	buffer_gl1_inv
	buffer_gl0_inv
	v_cmp_eq_u64_e32 vcc_lo, v[8:9], v[5:6]
	s_or_b32 s9, vcc_lo, s9
	s_andn2_b32 exec_lo, exec_lo, s9
	s_cbranch_execnz .LBB1_245
; %bb.246:
	s_or_b32 exec_lo, exec_lo, s9
.LBB1_247:
	s_or_b32 exec_lo, exec_lo, s8
.LBB1_248:
	s_or_b32 exec_lo, exec_lo, s5
	v_mov_b32_e32 v2, 0
	v_readfirstlane_b32 s8, v8
	v_readfirstlane_b32 s9, v9
	s_mov_b32 s5, exec_lo
	s_clause 0x1
	global_load_dwordx2 v[10:11], v2, s[6:7] offset:40
	global_load_dwordx4 v[4:7], v2, s[6:7]
	s_waitcnt vmcnt(1)
	v_readfirstlane_b32 s10, v10
	v_readfirstlane_b32 s11, v11
	s_and_b64 s[10:11], s[8:9], s[10:11]
	s_mul_i32 s12, s11, 24
	s_mul_hi_u32 s13, s10, 24
	s_mul_i32 s14, s10, 24
	s_add_i32 s13, s13, s12
	s_waitcnt vmcnt(0)
	v_add_co_u32 v8, vcc_lo, v4, s14
	v_add_co_ci_u32_e32 v9, vcc_lo, s13, v5, vcc_lo
	s_and_saveexec_b32 s12, s4
	s_cbranch_execz .LBB1_250
; %bb.249:
	v_mov_b32_e32 v10, s5
	v_mov_b32_e32 v11, v2
	;; [unrolled: 1-line block ×4, first 2 shown]
	global_store_dwordx4 v[8:9], v[10:13], off offset:8
.LBB1_250:
	s_or_b32 exec_lo, exec_lo, s12
	s_lshl_b64 s[10:11], s[10:11], 12
	s_mov_b32 s12, 0
	v_add_co_u32 v6, vcc_lo, v6, s10
	v_add_co_ci_u32_e32 v7, vcc_lo, s11, v7, vcc_lo
	s_mov_b32 s13, s12
	s_mov_b32 s14, s12
	;; [unrolled: 1-line block ×3, first 2 shown]
	v_and_or_b32 v0, 0xffffff1d, v0, 34
	v_mov_b32_e32 v3, v2
	v_readfirstlane_b32 s10, v6
	v_readfirstlane_b32 s11, v7
	v_mov_b32_e32 v10, s12
	v_mov_b32_e32 v11, s13
	;; [unrolled: 1-line block ×4, first 2 shown]
	global_store_dwordx4 v29, v[0:3], s[10:11]
	global_store_dwordx4 v29, v[10:13], s[10:11] offset:16
	global_store_dwordx4 v29, v[10:13], s[10:11] offset:32
	;; [unrolled: 1-line block ×3, first 2 shown]
	s_and_saveexec_b32 s5, s4
	s_cbranch_execz .LBB1_258
; %bb.251:
	v_mov_b32_e32 v6, 0
	v_mov_b32_e32 v10, s8
	;; [unrolled: 1-line block ×3, first 2 shown]
	s_clause 0x1
	global_load_dwordx2 v[12:13], v6, s[6:7] offset:32 glc dlc
	global_load_dwordx2 v[0:1], v6, s[6:7] offset:40
	s_waitcnt vmcnt(0)
	v_readfirstlane_b32 s10, v0
	v_readfirstlane_b32 s11, v1
	s_and_b64 s[10:11], s[10:11], s[8:9]
	s_mul_i32 s11, s11, 24
	s_mul_hi_u32 s12, s10, 24
	s_mul_i32 s10, s10, 24
	s_add_i32 s12, s12, s11
	v_add_co_u32 v4, vcc_lo, v4, s10
	v_add_co_ci_u32_e32 v5, vcc_lo, s12, v5, vcc_lo
	s_mov_b32 s10, exec_lo
	global_store_dwordx2 v[4:5], v[12:13], off
	s_waitcnt_vscnt null, 0x0
	global_atomic_cmpswap_x2 v[2:3], v6, v[10:13], s[6:7] offset:32 glc
	s_waitcnt vmcnt(0)
	v_cmpx_ne_u64_e64 v[2:3], v[12:13]
	s_cbranch_execz .LBB1_254
; %bb.252:
	s_mov_b32 s11, 0
.LBB1_253:                              ; =>This Inner Loop Header: Depth=1
	v_mov_b32_e32 v0, s8
	v_mov_b32_e32 v1, s9
	s_sleep 1
	global_store_dwordx2 v[4:5], v[2:3], off
	s_waitcnt_vscnt null, 0x0
	global_atomic_cmpswap_x2 v[0:1], v6, v[0:3], s[6:7] offset:32 glc
	s_waitcnt vmcnt(0)
	v_cmp_eq_u64_e32 vcc_lo, v[0:1], v[2:3]
	v_mov_b32_e32 v3, v1
	v_mov_b32_e32 v2, v0
	s_or_b32 s11, vcc_lo, s11
	s_andn2_b32 exec_lo, exec_lo, s11
	s_cbranch_execnz .LBB1_253
.LBB1_254:
	s_or_b32 exec_lo, exec_lo, s10
	v_mov_b32_e32 v3, 0
	s_mov_b32 s11, exec_lo
	s_mov_b32 s10, exec_lo
	v_mbcnt_lo_u32_b32 v2, s11, 0
	global_load_dwordx2 v[0:1], v3, s[6:7] offset:16
	v_cmpx_eq_u32_e32 0, v2
	s_cbranch_execz .LBB1_256
; %bb.255:
	s_bcnt1_i32_b32 s11, s11
	v_mov_b32_e32 v2, s11
	s_waitcnt vmcnt(0)
	global_atomic_add_x2 v[0:1], v[2:3], off offset:8
.LBB1_256:
	s_or_b32 exec_lo, exec_lo, s10
	s_waitcnt vmcnt(0)
	global_load_dwordx2 v[2:3], v[0:1], off offset:16
	s_waitcnt vmcnt(0)
	v_cmp_eq_u64_e32 vcc_lo, 0, v[2:3]
	s_cbranch_vccnz .LBB1_258
; %bb.257:
	global_load_dword v0, v[0:1], off offset:24
	v_mov_b32_e32 v1, 0
	s_waitcnt vmcnt(0)
	v_and_b32_e32 v4, 0x7fffff, v0
	s_waitcnt_vscnt null, 0x0
	global_store_dwordx2 v[2:3], v[0:1], off
	v_readfirstlane_b32 m0, v4
	s_sendmsg sendmsg(MSG_INTERRUPT)
.LBB1_258:
	s_or_b32 exec_lo, exec_lo, s5
	s_branch .LBB1_262
	.p2align	6
.LBB1_259:                              ;   in Loop: Header=BB1_262 Depth=1
	s_or_b32 exec_lo, exec_lo, s5
	v_readfirstlane_b32 s5, v0
	s_cmp_eq_u32 s5, 0
	s_cbranch_scc1 .LBB1_261
; %bb.260:                              ;   in Loop: Header=BB1_262 Depth=1
	s_sleep 1
	s_cbranch_execnz .LBB1_262
	s_branch .LBB1_264
	.p2align	6
.LBB1_261:
	s_branch .LBB1_264
.LBB1_262:                              ; =>This Inner Loop Header: Depth=1
	v_mov_b32_e32 v0, 1
	s_and_saveexec_b32 s5, s4
	s_cbranch_execz .LBB1_259
; %bb.263:                              ;   in Loop: Header=BB1_262 Depth=1
	global_load_dword v0, v[8:9], off offset:20 glc dlc
	s_waitcnt vmcnt(0)
	buffer_gl1_inv
	buffer_gl0_inv
	v_and_b32_e32 v0, 1, v0
	s_branch .LBB1_259
.LBB1_264:
	s_and_saveexec_b32 s5, s4
	s_cbranch_execz .LBB1_268
; %bb.265:
	v_mov_b32_e32 v6, 0
	s_clause 0x2
	global_load_dwordx2 v[2:3], v6, s[6:7] offset:40
	global_load_dwordx2 v[7:8], v6, s[6:7] offset:24 glc dlc
	global_load_dwordx2 v[4:5], v6, s[6:7]
	s_waitcnt vmcnt(2)
	v_add_co_u32 v9, vcc_lo, v2, 1
	v_add_co_ci_u32_e32 v10, vcc_lo, 0, v3, vcc_lo
	v_add_co_u32 v0, vcc_lo, v9, s8
	v_add_co_ci_u32_e32 v1, vcc_lo, s9, v10, vcc_lo
	v_cmp_eq_u64_e32 vcc_lo, 0, v[0:1]
	v_cndmask_b32_e32 v1, v1, v10, vcc_lo
	v_cndmask_b32_e32 v0, v0, v9, vcc_lo
	v_and_b32_e32 v3, v1, v3
	v_and_b32_e32 v2, v0, v2
	v_mul_lo_u32 v3, v3, 24
	v_mul_hi_u32 v9, v2, 24
	v_mul_lo_u32 v2, v2, 24
	v_add_nc_u32_e32 v3, v9, v3
	s_waitcnt vmcnt(0)
	v_add_co_u32 v4, vcc_lo, v4, v2
	v_mov_b32_e32 v2, v7
	v_add_co_ci_u32_e32 v5, vcc_lo, v5, v3, vcc_lo
	v_mov_b32_e32 v3, v8
	global_store_dwordx2 v[4:5], v[7:8], off
	s_waitcnt_vscnt null, 0x0
	global_atomic_cmpswap_x2 v[2:3], v6, v[0:3], s[6:7] offset:24 glc
	s_waitcnt vmcnt(0)
	v_cmp_ne_u64_e32 vcc_lo, v[2:3], v[7:8]
	s_and_b32 exec_lo, exec_lo, vcc_lo
	s_cbranch_execz .LBB1_268
; %bb.266:
	s_mov_b32 s4, 0
.LBB1_267:                              ; =>This Inner Loop Header: Depth=1
	s_sleep 1
	global_store_dwordx2 v[4:5], v[2:3], off
	s_waitcnt_vscnt null, 0x0
	global_atomic_cmpswap_x2 v[7:8], v6, v[0:3], s[6:7] offset:24 glc
	s_waitcnt vmcnt(0)
	v_cmp_eq_u64_e32 vcc_lo, v[7:8], v[2:3]
	v_mov_b32_e32 v2, v7
	v_mov_b32_e32 v3, v8
	s_or_b32 s4, vcc_lo, s4
	s_andn2_b32 exec_lo, exec_lo, s4
	s_cbranch_execnz .LBB1_267
.LBB1_268:
	s_or_b32 exec_lo, exec_lo, s5
	s_or_b32 exec_lo, exec_lo, s18
	s_waitcnt lgkmcnt(0)
	s_setpc_b64 s[30:31]
.Lfunc_end1:
	.size	_ZN8migraphx4test12print_streamIKNS_13basic_printerIZNS_4coutEvEUlT_E_EEPiEEvRS3_RKT0_, .Lfunc_end1-_ZN8migraphx4test12print_streamIKNS_13basic_printerIZNS_4coutEvEUlT_E_EEPiEEvRS3_RKT0_
                                        ; -- End function
	.section	.AMDGPU.csdata,"",@progbits
; Function info:
; codeLenInByte = 9452
; NumSgprs: 34
; NumVgprs: 32
; ScratchSize: 0
; MemoryBound: 0
	.text
	.p2align	2                               ; -- Begin function _ZN8migraphx4test4failEv
	.type	_ZN8migraphx4test4failEv,@function
_ZN8migraphx4test4failEv:               ; @_ZN8migraphx4test4failEv
; %bb.0:
	s_waitcnt vmcnt(0) expcnt(0) lgkmcnt(0)
	v_mov_b32_e32 v0, 0
	s_clause 0x1
	global_load_dword v1, v0, s[8:9] offset:18
	global_load_ushort v2, v0, s[8:9] offset:22
	s_clause 0x1
	s_load_dwordx2 s[4:5], s[8:9], 0x0
	s_load_dword s6, s[8:9], 0x8
	s_waitcnt vmcnt(1)
	v_cmp_ne_u16_e32 vcc_lo, 0, v1
	v_cmp_ne_u16_sdwa s7, v1, v0 src0_sel:WORD_1 src1_sel:DWORD
	s_cmp_lg_u32 vcc_lo, 0
	s_waitcnt vmcnt(0)
	v_cmp_ne_u16_e32 vcc_lo, 0, v2
	s_waitcnt lgkmcnt(0)
	s_addc_u32 s10, s4, 0
	s_cmp_lg_u32 s7, 0
	s_addc_u32 s7, s5, 0
	s_cmp_lg_u32 vcc_lo, 0
	s_mul_i32 s7, s7, s10
	s_addc_u32 s10, s6, 0
	s_mul_i32 s7, s7, s10
	s_cmp_lg_u32 s7, 1
	s_cbranch_scc1 .LBB2_3
; %bb.1:
	s_cmp_lt_u32 s14, s6
	s_cselect_b32 s6, 16, 22
	s_add_u32 s6, s8, s6
	s_addc_u32 s7, s9, 0
	s_cmp_lt_u32 s13, s5
	s_cselect_b32 s5, 14, 20
	s_add_u32 s10, s8, s5
	s_addc_u32 s11, s9, 0
	s_clause 0x1
	global_load_ushort v1, v0, s[6:7]
	global_load_ushort v2, v0, s[10:11]
	s_cmp_lt_u32 s12, s4
	s_cselect_b32 s4, 12, 18
	s_add_u32 s4, s8, s4
	s_addc_u32 s5, s9, 0
	global_load_ushort v0, v0, s[4:5]
	s_waitcnt vmcnt(1)
	v_mul_lo_u32 v1, v2, v1
	s_waitcnt vmcnt(0)
	v_mul_lo_u32 v0, v1, v0
	v_cmp_lt_u32_e32 vcc_lo, 32, v0
	s_cbranch_vccnz .LBB2_3
; %bb.2:
	s_endpgm
.LBB2_3:
	s_trap 2
.Lfunc_end2:
	.size	_ZN8migraphx4test4failEv, .Lfunc_end2-_ZN8migraphx4test4failEv
                                        ; -- End function
	.section	.AMDGPU.csdata,"",@progbits
; Function info:
; codeLenInByte = 232
; NumSgprs: 17
; NumVgprs: 3
; ScratchSize: 0
; MemoryBound: 0
	.text
	.p2align	2                               ; -- Begin function _ZL37search_pattern_appears_multiple_timesRN8migraphx4test12test_managerE
	.type	_ZL37search_pattern_appears_multiple_timesRN8migraphx4test12test_managerE,@function
_ZL37search_pattern_appears_multiple_timesRN8migraphx4test12test_managerE: ; @_ZL37search_pattern_appears_multiple_timesRN8migraphx4test12test_managerE
; %bb.0:
	s_waitcnt vmcnt(0) expcnt(0) lgkmcnt(0)
	s_mov_b32 s4, s33
	s_mov_b32 s33, s32
	s_or_saveexec_b32 s5, -1
	buffer_store_dword v40, off, s[0:3], s33 offset:36 ; 4-byte Folded Spill
	s_mov_b32 exec_lo, s5
	v_writelane_b32 v40, s4, 2
	v_writelane_b32 v40, s30, 0
	s_addk_i32 s32, 0x600
	v_writelane_b32 v40, s31, 1
	v_mov_b32_e32 v37, v1
	v_lshrrev_b32_e64 v1, 5, s33
	v_mov_b32_e32 v36, v0
	v_mov_b32_e32 v0, 1
	;; [unrolled: 1-line block ×4, first 2 shown]
	v_add_nc_u32_e32 v38, 4, v1
	v_lshrrev_b32_e64 v1, 5, s33
	s_mov_b64 s[4:5], src_private_base
	buffer_store_dword v0, off, s[0:3], s33
	buffer_store_dword v2, off, s[0:3], s33 offset:4
	buffer_store_dword v3, off, s[0:3], s33 offset:8
	buffer_store_dword v0, off, s[0:3], s33 offset:12
	buffer_store_dword v2, off, s[0:3], s33 offset:16
	buffer_store_dword v3, off, s[0:3], s33 offset:20
	buffer_store_dword v0, off, s[0:3], s33 offset:24
	s_mov_b32 s4, 0
	v_add_nc_u32_e32 v0, 36, v1
	v_mov_b32_e32 v1, s5
	s_mov_b32 s6, 0
	buffer_store_dword v2, off, s[0:3], s33 offset:28
	buffer_store_dword v3, off, s[0:3], s33 offset:32
                                        ; implicit-def: $sgpr7
                                        ; implicit-def: $vgpr2_vgpr3
	s_inst_prefetch 0x1
	s_branch .LBB3_4
	.p2align	6
.LBB3_1:                                ;   in Loop: Header=BB3_4 Depth=1
	v_mov_b32_e32 v2, v4
	v_mov_b32_e32 v3, v5
	s_orn2_b32 s7, s7, exec_lo
.LBB3_2:                                ;   in Loop: Header=BB3_4 Depth=1
	s_or_b32 exec_lo, exec_lo, s10
	v_mov_b32_e32 v49, v3
	v_mov_b32_e32 v48, v2
.LBB3_3:                                ;   in Loop: Header=BB3_4 Depth=1
	s_xor_b32 s10, s7, -1
	v_mov_b32_e32 v2, v48
	s_add_i32 s6, s6, 4
	v_mov_b32_e32 v3, v49
	s_and_b32 s10, exec_lo, s10
	s_or_b32 s4, s10, s4
	s_andn2_b32 exec_lo, exec_lo, s4
	s_cbranch_execz .LBB3_8
.LBB3_4:                                ; =>This Inner Loop Header: Depth=1
	v_mov_b32_e32 v49, v1
	v_mov_b32_e32 v48, v0
	s_andn2_b32 s7, s7, exec_lo
	s_cmp_eq_u32 s6, 36
	s_cbranch_scc1 .LBB3_3
; %bb.5:                                ;   in Loop: Header=BB3_4 Depth=1
	v_lshrrev_b32_e64 v4, 5, s33
	s_mov_b32 s7, -1
	s_mov_b32 s10, exec_lo
	v_add_nc_u32_e32 v6, s6, v4
	buffer_load_dword v4, v6, s[0:3], 0 offen
	s_waitcnt vmcnt(0)
	v_cmpx_eq_u32_e32 2, v4
	s_cbranch_execz .LBB3_2
; %bb.6:                                ;   in Loop: Header=BB3_4 Depth=1
	v_mov_b32_e32 v5, v1
	v_mov_b32_e32 v4, v0
	s_cmp_eq_u32 s6, 32
	s_mov_b32 s7, 0
	s_cbranch_scc1 .LBB3_1
; %bb.7:                                ;   in Loop: Header=BB3_4 Depth=1
	buffer_load_dword v4, v6, s[0:3], 0 offen offset:4
	s_waitcnt vmcnt(0)
	v_cmp_ne_u32_e32 vcc_lo, 3, v4
	v_cndmask_b32_e32 v5, s5, v3, vcc_lo
	v_cndmask_b32_e32 v4, v6, v2, vcc_lo
	s_and_b32 s7, vcc_lo, exec_lo
	s_branch .LBB3_1
.LBB3_8:
	s_inst_prefetch 0x2
	s_or_b32 exec_lo, exec_lo, s4
	s_mov_b64 s[28:29], src_private_base
	s_mov_b32 s4, exec_lo
	v_mov_b32_e32 v39, s29
	v_cmpx_ne_u64_e64 v[48:49], v[38:39]
	s_xor_b32 s28, exec_lo, s4
	s_cbranch_execz .LBB3_1687
; %bb.9:
	v_and_b32_e32 v0, 0x3ff, v31
	s_mov_b32 s34, exec_lo
	v_cmpx_eq_u32_e32 0, v0
	s_cbranch_execz .LBB3_1686
; %bb.10:
	s_load_dwordx2 s[26:27], s[8:9], 0x50
	v_mbcnt_lo_u32_b32 v50, -1, 0
	v_mov_b32_e32 v6, 0
	v_mov_b32_e32 v7, 0
	v_readfirstlane_b32 s4, v50
	v_cmp_eq_u32_e64 s4, s4, v50
	s_and_saveexec_b32 s5, s4
	s_cbranch_execz .LBB3_16
; %bb.11:
	v_mov_b32_e32 v0, 0
	s_mov_b32 s6, exec_lo
	s_waitcnt lgkmcnt(0)
	global_load_dwordx2 v[3:4], v0, s[26:27] offset:24 glc dlc
	s_waitcnt vmcnt(0)
	buffer_gl1_inv
	buffer_gl0_inv
	s_clause 0x1
	global_load_dwordx2 v[1:2], v0, s[26:27] offset:40
	global_load_dwordx2 v[5:6], v0, s[26:27]
	s_waitcnt vmcnt(1)
	v_and_b32_e32 v2, v2, v4
	v_and_b32_e32 v1, v1, v3
	v_mul_lo_u32 v2, v2, 24
	v_mul_hi_u32 v7, v1, 24
	v_mul_lo_u32 v1, v1, 24
	v_add_nc_u32_e32 v2, v7, v2
	s_waitcnt vmcnt(0)
	v_add_co_u32 v1, vcc_lo, v5, v1
	v_add_co_ci_u32_e32 v2, vcc_lo, v6, v2, vcc_lo
	global_load_dwordx2 v[1:2], v[1:2], off glc dlc
	s_waitcnt vmcnt(0)
	global_atomic_cmpswap_x2 v[6:7], v0, v[1:4], s[26:27] offset:24 glc
	s_waitcnt vmcnt(0)
	buffer_gl1_inv
	buffer_gl0_inv
	v_cmpx_ne_u64_e64 v[6:7], v[3:4]
	s_cbranch_execz .LBB3_15
; %bb.12:
	s_mov_b32 s7, 0
	.p2align	6
.LBB3_13:                               ; =>This Inner Loop Header: Depth=1
	s_sleep 1
	s_clause 0x1
	global_load_dwordx2 v[1:2], v0, s[26:27] offset:40
	global_load_dwordx2 v[8:9], v0, s[26:27]
	v_mov_b32_e32 v3, v6
	v_mov_b32_e32 v4, v7
	s_waitcnt vmcnt(1)
	v_and_b32_e32 v1, v1, v3
	v_and_b32_e32 v2, v2, v4
	s_waitcnt vmcnt(0)
	v_mad_u64_u32 v[5:6], null, v1, 24, v[8:9]
	v_mov_b32_e32 v1, v6
	v_mad_u64_u32 v[1:2], null, v2, 24, v[1:2]
	v_mov_b32_e32 v6, v1
	global_load_dwordx2 v[1:2], v[5:6], off glc dlc
	s_waitcnt vmcnt(0)
	global_atomic_cmpswap_x2 v[6:7], v0, v[1:4], s[26:27] offset:24 glc
	s_waitcnt vmcnt(0)
	buffer_gl1_inv
	buffer_gl0_inv
	v_cmp_eq_u64_e32 vcc_lo, v[6:7], v[3:4]
	s_or_b32 s7, vcc_lo, s7
	s_andn2_b32 exec_lo, exec_lo, s7
	s_cbranch_execnz .LBB3_13
; %bb.14:
	s_or_b32 exec_lo, exec_lo, s7
.LBB3_15:
	s_or_b32 exec_lo, exec_lo, s6
.LBB3_16:
	s_or_b32 exec_lo, exec_lo, s5
	v_mov_b32_e32 v5, 0
	v_readfirstlane_b32 s6, v6
	v_readfirstlane_b32 s7, v7
	s_mov_b32 s5, exec_lo
	s_waitcnt lgkmcnt(0)
	s_clause 0x1
	global_load_dwordx2 v[8:9], v5, s[26:27] offset:40
	global_load_dwordx4 v[0:3], v5, s[26:27]
	s_waitcnt vmcnt(1)
	v_readfirstlane_b32 s10, v8
	v_readfirstlane_b32 s11, v9
	s_and_b64 s[10:11], s[6:7], s[10:11]
	s_mul_i32 s15, s11, 24
	s_mul_hi_u32 s16, s10, 24
	s_mul_i32 s17, s10, 24
	s_add_i32 s16, s16, s15
	s_waitcnt vmcnt(0)
	v_add_co_u32 v8, vcc_lo, v0, s17
	v_add_co_ci_u32_e32 v9, vcc_lo, s16, v1, vcc_lo
	s_and_saveexec_b32 s15, s4
	s_cbranch_execz .LBB3_18
; %bb.17:
	v_mov_b32_e32 v4, s5
	v_mov_b32_e32 v6, 2
	;; [unrolled: 1-line block ×3, first 2 shown]
	global_store_dwordx4 v[8:9], v[4:7], off offset:8
.LBB3_18:
	s_or_b32 exec_lo, exec_lo, s15
	s_lshl_b64 s[10:11], s[10:11], 12
	v_lshlrev_b32_e32 v39, 6, v50
	v_add_co_u32 v2, vcc_lo, v2, s10
	v_add_co_ci_u32_e32 v3, vcc_lo, s11, v3, vcc_lo
	s_mov_b32 s16, 0
	v_add_co_u32 v10, vcc_lo, v2, v39
	s_mov_b32 s17, s16
	s_mov_b32 s18, s16
	;; [unrolled: 1-line block ×3, first 2 shown]
	v_mov_b32_e32 v4, 33
	v_mov_b32_e32 v6, v5
	v_mov_b32_e32 v7, v5
	v_readfirstlane_b32 s10, v2
	v_readfirstlane_b32 s11, v3
	v_mov_b32_e32 v12, s16
	v_add_co_ci_u32_e32 v11, vcc_lo, 0, v3, vcc_lo
	v_mov_b32_e32 v13, s17
	v_mov_b32_e32 v14, s18
	;; [unrolled: 1-line block ×3, first 2 shown]
	global_store_dwordx4 v39, v[4:7], s[10:11]
	global_store_dwordx4 v39, v[12:15], s[10:11] offset:16
	global_store_dwordx4 v39, v[12:15], s[10:11] offset:32
	;; [unrolled: 1-line block ×3, first 2 shown]
	s_and_saveexec_b32 s5, s4
	s_cbranch_execz .LBB3_26
; %bb.19:
	v_mov_b32_e32 v6, 0
	v_mov_b32_e32 v12, s6
	v_mov_b32_e32 v13, s7
	s_mov_b32 s10, exec_lo
	s_clause 0x1
	global_load_dwordx2 v[14:15], v6, s[26:27] offset:32 glc dlc
	global_load_dwordx2 v[2:3], v6, s[26:27] offset:40
	s_waitcnt vmcnt(0)
	v_and_b32_e32 v3, s7, v3
	v_and_b32_e32 v2, s6, v2
	v_mul_lo_u32 v3, v3, 24
	v_mul_hi_u32 v4, v2, 24
	v_mul_lo_u32 v2, v2, 24
	v_add_nc_u32_e32 v3, v4, v3
	v_add_co_u32 v4, vcc_lo, v0, v2
	v_add_co_ci_u32_e32 v5, vcc_lo, v1, v3, vcc_lo
	global_store_dwordx2 v[4:5], v[14:15], off
	s_waitcnt_vscnt null, 0x0
	global_atomic_cmpswap_x2 v[2:3], v6, v[12:15], s[26:27] offset:32 glc
	s_waitcnt vmcnt(0)
	v_cmpx_ne_u64_e64 v[2:3], v[14:15]
	s_cbranch_execz .LBB3_22
; %bb.20:
	s_mov_b32 s11, 0
.LBB3_21:                               ; =>This Inner Loop Header: Depth=1
	v_mov_b32_e32 v0, s6
	v_mov_b32_e32 v1, s7
	s_sleep 1
	global_store_dwordx2 v[4:5], v[2:3], off
	s_waitcnt_vscnt null, 0x0
	global_atomic_cmpswap_x2 v[0:1], v6, v[0:3], s[26:27] offset:32 glc
	s_waitcnt vmcnt(0)
	v_cmp_eq_u64_e32 vcc_lo, v[0:1], v[2:3]
	v_mov_b32_e32 v3, v1
	v_mov_b32_e32 v2, v0
	s_or_b32 s11, vcc_lo, s11
	s_andn2_b32 exec_lo, exec_lo, s11
	s_cbranch_execnz .LBB3_21
.LBB3_22:
	s_or_b32 exec_lo, exec_lo, s10
	v_mov_b32_e32 v3, 0
	s_mov_b32 s11, exec_lo
	s_mov_b32 s10, exec_lo
	v_mbcnt_lo_u32_b32 v2, s11, 0
	global_load_dwordx2 v[0:1], v3, s[26:27] offset:16
	v_cmpx_eq_u32_e32 0, v2
	s_cbranch_execz .LBB3_24
; %bb.23:
	s_bcnt1_i32_b32 s11, s11
	v_mov_b32_e32 v2, s11
	s_waitcnt vmcnt(0)
	global_atomic_add_x2 v[0:1], v[2:3], off offset:8
.LBB3_24:
	s_or_b32 exec_lo, exec_lo, s10
	s_waitcnt vmcnt(0)
	global_load_dwordx2 v[2:3], v[0:1], off offset:16
	s_waitcnt vmcnt(0)
	v_cmp_eq_u64_e32 vcc_lo, 0, v[2:3]
	s_cbranch_vccnz .LBB3_26
; %bb.25:
	global_load_dword v0, v[0:1], off offset:24
	v_mov_b32_e32 v1, 0
	s_waitcnt vmcnt(0)
	v_and_b32_e32 v4, 0x7fffff, v0
	s_waitcnt_vscnt null, 0x0
	global_store_dwordx2 v[2:3], v[0:1], off
	v_readfirstlane_b32 m0, v4
	s_sendmsg sendmsg(MSG_INTERRUPT)
.LBB3_26:
	s_or_b32 exec_lo, exec_lo, s5
	s_branch .LBB3_30
	.p2align	6
.LBB3_27:                               ;   in Loop: Header=BB3_30 Depth=1
	s_or_b32 exec_lo, exec_lo, s5
	v_readfirstlane_b32 s5, v0
	s_cmp_eq_u32 s5, 0
	s_cbranch_scc1 .LBB3_29
; %bb.28:                               ;   in Loop: Header=BB3_30 Depth=1
	s_sleep 1
	s_cbranch_execnz .LBB3_30
	s_branch .LBB3_32
	.p2align	6
.LBB3_29:
	s_branch .LBB3_32
.LBB3_30:                               ; =>This Inner Loop Header: Depth=1
	v_mov_b32_e32 v0, 1
	s_and_saveexec_b32 s5, s4
	s_cbranch_execz .LBB3_27
; %bb.31:                               ;   in Loop: Header=BB3_30 Depth=1
	global_load_dword v0, v[8:9], off offset:20 glc dlc
	s_waitcnt vmcnt(0)
	buffer_gl1_inv
	buffer_gl0_inv
	v_and_b32_e32 v0, 1, v0
	s_branch .LBB3_27
.LBB3_32:
	global_load_dwordx2 v[4:5], v[10:11], off
	s_and_saveexec_b32 s5, s4
	s_cbranch_execz .LBB3_36
; %bb.33:
	v_mov_b32_e32 v8, 0
	s_clause 0x2
	global_load_dwordx2 v[2:3], v8, s[26:27] offset:40
	global_load_dwordx2 v[9:10], v8, s[26:27] offset:24 glc dlc
	global_load_dwordx2 v[6:7], v8, s[26:27]
	s_waitcnt vmcnt(2)
	v_add_co_u32 v11, vcc_lo, v2, 1
	v_add_co_ci_u32_e32 v12, vcc_lo, 0, v3, vcc_lo
	v_add_co_u32 v0, vcc_lo, v11, s6
	v_add_co_ci_u32_e32 v1, vcc_lo, s7, v12, vcc_lo
	v_cmp_eq_u64_e32 vcc_lo, 0, v[0:1]
	v_cndmask_b32_e32 v1, v1, v12, vcc_lo
	v_cndmask_b32_e32 v0, v0, v11, vcc_lo
	v_and_b32_e32 v3, v1, v3
	v_and_b32_e32 v2, v0, v2
	v_mul_lo_u32 v3, v3, 24
	v_mul_hi_u32 v11, v2, 24
	v_mul_lo_u32 v2, v2, 24
	v_add_nc_u32_e32 v3, v11, v3
	s_waitcnt vmcnt(0)
	v_add_co_u32 v6, vcc_lo, v6, v2
	v_mov_b32_e32 v2, v9
	v_add_co_ci_u32_e32 v7, vcc_lo, v7, v3, vcc_lo
	v_mov_b32_e32 v3, v10
	global_store_dwordx2 v[6:7], v[9:10], off
	s_waitcnt_vscnt null, 0x0
	global_atomic_cmpswap_x2 v[2:3], v8, v[0:3], s[26:27] offset:24 glc
	s_waitcnt vmcnt(0)
	v_cmp_ne_u64_e32 vcc_lo, v[2:3], v[9:10]
	s_and_b32 exec_lo, exec_lo, vcc_lo
	s_cbranch_execz .LBB3_36
; %bb.34:
	s_mov_b32 s4, 0
.LBB3_35:                               ; =>This Inner Loop Header: Depth=1
	s_sleep 1
	global_store_dwordx2 v[6:7], v[2:3], off
	s_waitcnt_vscnt null, 0x0
	global_atomic_cmpswap_x2 v[9:10], v8, v[0:3], s[26:27] offset:24 glc
	s_waitcnt vmcnt(0)
	v_cmp_eq_u64_e32 vcc_lo, v[9:10], v[2:3]
	v_mov_b32_e32 v2, v9
	v_mov_b32_e32 v3, v10
	s_or_b32 s4, vcc_lo, s4
	s_andn2_b32 exec_lo, exec_lo, s4
	s_cbranch_execnz .LBB3_35
.LBB3_36:
	s_or_b32 exec_lo, exec_lo, s5
	s_getpc_b64 s[6:7]
	s_add_u32 s6, s6, .str.5@rel32@lo+4
	s_addc_u32 s7, s7, .str.5@rel32@hi+12
	s_cmp_lg_u64 s[6:7], 0
	s_cselect_b32 s15, -1, 0
	s_and_b32 vcc_lo, exec_lo, s15
	s_cbranch_vccz .LBB3_115
; %bb.37:
	s_waitcnt vmcnt(0)
	v_and_b32_e32 v28, 2, v4
	v_mov_b32_e32 v7, 0
	v_and_b32_e32 v0, -3, v4
	v_mov_b32_e32 v1, v5
	v_mov_b32_e32 v8, 2
	;; [unrolled: 1-line block ×3, first 2 shown]
	s_mov_b64 s[10:11], 3
	s_branch .LBB3_39
.LBB3_38:                               ;   in Loop: Header=BB3_39 Depth=1
	s_or_b32 exec_lo, exec_lo, s5
	s_sub_u32 s10, s10, s16
	s_subb_u32 s11, s11, s17
	s_add_u32 s6, s6, s16
	s_addc_u32 s7, s7, s17
	s_cmp_lg_u64 s[10:11], 0
	s_cbranch_scc0 .LBB3_114
.LBB3_39:                               ; =>This Loop Header: Depth=1
                                        ;     Child Loop BB3_48 Depth 2
                                        ;     Child Loop BB3_44 Depth 2
	;; [unrolled: 1-line block ×11, first 2 shown]
	v_cmp_lt_u64_e64 s4, s[10:11], 56
	v_cmp_gt_u64_e64 s5, s[10:11], 7
                                        ; implicit-def: $vgpr2_vgpr3
                                        ; implicit-def: $sgpr22
	s_and_b32 s4, s4, exec_lo
	s_cselect_b32 s17, s11, 0
	s_cselect_b32 s16, s10, 56
	s_and_b32 vcc_lo, exec_lo, s5
	s_mov_b32 s4, -1
	s_cbranch_vccz .LBB3_46
; %bb.40:                               ;   in Loop: Header=BB3_39 Depth=1
	s_andn2_b32 vcc_lo, exec_lo, s4
	s_mov_b64 s[4:5], s[6:7]
	s_cbranch_vccz .LBB3_50
.LBB3_41:                               ;   in Loop: Header=BB3_39 Depth=1
	s_cmp_gt_u32 s22, 7
	s_cbranch_scc1 .LBB3_51
.LBB3_42:                               ;   in Loop: Header=BB3_39 Depth=1
	v_mov_b32_e32 v10, 0
	v_mov_b32_e32 v11, 0
	s_cmp_eq_u32 s22, 0
	s_cbranch_scc1 .LBB3_45
; %bb.43:                               ;   in Loop: Header=BB3_39 Depth=1
	s_mov_b64 s[18:19], 0
	s_mov_b64 s[20:21], 0
.LBB3_44:                               ;   Parent Loop BB3_39 Depth=1
                                        ; =>  This Inner Loop Header: Depth=2
	s_add_u32 s24, s4, s20
	s_addc_u32 s25, s5, s21
	s_add_u32 s20, s20, 1
	global_load_ubyte v6, v7, s[24:25]
	s_addc_u32 s21, s21, 0
	s_waitcnt vmcnt(0)
	v_and_b32_e32 v6, 0xffff, v6
	v_lshlrev_b64 v[12:13], s18, v[6:7]
	s_add_u32 s18, s18, 8
	s_addc_u32 s19, s19, 0
	s_cmp_lg_u32 s22, s20
	v_or_b32_e32 v10, v12, v10
	v_or_b32_e32 v11, v13, v11
	s_cbranch_scc1 .LBB3_44
.LBB3_45:                               ;   in Loop: Header=BB3_39 Depth=1
	s_mov_b32 s23, 0
	s_cbranch_execz .LBB3_52
	s_branch .LBB3_53
.LBB3_46:                               ;   in Loop: Header=BB3_39 Depth=1
	s_waitcnt vmcnt(0)
	v_mov_b32_e32 v2, 0
	v_mov_b32_e32 v3, 0
	s_cmp_eq_u64 s[10:11], 0
	s_mov_b64 s[4:5], 0
	s_cbranch_scc1 .LBB3_49
; %bb.47:                               ;   in Loop: Header=BB3_39 Depth=1
	v_mov_b32_e32 v2, 0
	v_mov_b32_e32 v3, 0
	s_lshl_b64 s[18:19], s[16:17], 3
	s_mov_b64 s[20:21], s[6:7]
.LBB3_48:                               ;   Parent Loop BB3_39 Depth=1
                                        ; =>  This Inner Loop Header: Depth=2
	global_load_ubyte v6, v7, s[20:21]
	s_waitcnt vmcnt(0)
	v_and_b32_e32 v6, 0xffff, v6
	v_lshlrev_b64 v[10:11], s4, v[6:7]
	s_add_u32 s4, s4, 8
	s_addc_u32 s5, s5, 0
	s_add_u32 s20, s20, 1
	s_addc_u32 s21, s21, 0
	s_cmp_lg_u32 s18, s4
	v_or_b32_e32 v2, v10, v2
	v_or_b32_e32 v3, v11, v3
	s_cbranch_scc1 .LBB3_48
.LBB3_49:                               ;   in Loop: Header=BB3_39 Depth=1
	s_mov_b32 s22, 0
	s_mov_b64 s[4:5], s[6:7]
	s_cbranch_execnz .LBB3_41
.LBB3_50:                               ;   in Loop: Header=BB3_39 Depth=1
	global_load_dwordx2 v[2:3], v7, s[6:7]
	s_add_i32 s22, s16, -8
	s_add_u32 s4, s6, 8
	s_addc_u32 s5, s7, 0
	s_cmp_gt_u32 s22, 7
	s_cbranch_scc0 .LBB3_42
.LBB3_51:                               ;   in Loop: Header=BB3_39 Depth=1
                                        ; implicit-def: $vgpr10_vgpr11
                                        ; implicit-def: $sgpr23
.LBB3_52:                               ;   in Loop: Header=BB3_39 Depth=1
	global_load_dwordx2 v[10:11], v7, s[4:5]
	s_add_i32 s23, s22, -8
	s_add_u32 s4, s4, 8
	s_addc_u32 s5, s5, 0
.LBB3_53:                               ;   in Loop: Header=BB3_39 Depth=1
	s_cmp_gt_u32 s23, 7
	s_cbranch_scc1 .LBB3_58
; %bb.54:                               ;   in Loop: Header=BB3_39 Depth=1
	v_mov_b32_e32 v12, 0
	v_mov_b32_e32 v13, 0
	s_cmp_eq_u32 s23, 0
	s_cbranch_scc1 .LBB3_57
; %bb.55:                               ;   in Loop: Header=BB3_39 Depth=1
	s_mov_b64 s[18:19], 0
	s_mov_b64 s[20:21], 0
.LBB3_56:                               ;   Parent Loop BB3_39 Depth=1
                                        ; =>  This Inner Loop Header: Depth=2
	s_add_u32 s24, s4, s20
	s_addc_u32 s25, s5, s21
	s_add_u32 s20, s20, 1
	global_load_ubyte v6, v7, s[24:25]
	s_addc_u32 s21, s21, 0
	s_waitcnt vmcnt(0)
	v_and_b32_e32 v6, 0xffff, v6
	v_lshlrev_b64 v[14:15], s18, v[6:7]
	s_add_u32 s18, s18, 8
	s_addc_u32 s19, s19, 0
	s_cmp_lg_u32 s23, s20
	v_or_b32_e32 v12, v14, v12
	v_or_b32_e32 v13, v15, v13
	s_cbranch_scc1 .LBB3_56
.LBB3_57:                               ;   in Loop: Header=BB3_39 Depth=1
	s_mov_b32 s22, 0
	s_cbranch_execz .LBB3_59
	s_branch .LBB3_60
.LBB3_58:                               ;   in Loop: Header=BB3_39 Depth=1
                                        ; implicit-def: $sgpr22
.LBB3_59:                               ;   in Loop: Header=BB3_39 Depth=1
	global_load_dwordx2 v[12:13], v7, s[4:5]
	s_add_i32 s22, s23, -8
	s_add_u32 s4, s4, 8
	s_addc_u32 s5, s5, 0
.LBB3_60:                               ;   in Loop: Header=BB3_39 Depth=1
	s_cmp_gt_u32 s22, 7
	s_cbranch_scc1 .LBB3_65
; %bb.61:                               ;   in Loop: Header=BB3_39 Depth=1
	v_mov_b32_e32 v14, 0
	v_mov_b32_e32 v15, 0
	s_cmp_eq_u32 s22, 0
	s_cbranch_scc1 .LBB3_64
; %bb.62:                               ;   in Loop: Header=BB3_39 Depth=1
	s_mov_b64 s[18:19], 0
	s_mov_b64 s[20:21], 0
.LBB3_63:                               ;   Parent Loop BB3_39 Depth=1
                                        ; =>  This Inner Loop Header: Depth=2
	s_add_u32 s24, s4, s20
	s_addc_u32 s25, s5, s21
	s_add_u32 s20, s20, 1
	global_load_ubyte v6, v7, s[24:25]
	s_addc_u32 s21, s21, 0
	s_waitcnt vmcnt(0)
	v_and_b32_e32 v6, 0xffff, v6
	v_lshlrev_b64 v[16:17], s18, v[6:7]
	s_add_u32 s18, s18, 8
	s_addc_u32 s19, s19, 0
	s_cmp_lg_u32 s22, s20
	v_or_b32_e32 v14, v16, v14
	v_or_b32_e32 v15, v17, v15
	s_cbranch_scc1 .LBB3_63
.LBB3_64:                               ;   in Loop: Header=BB3_39 Depth=1
	s_mov_b32 s23, 0
	s_cbranch_execz .LBB3_66
	s_branch .LBB3_67
.LBB3_65:                               ;   in Loop: Header=BB3_39 Depth=1
                                        ; implicit-def: $vgpr14_vgpr15
                                        ; implicit-def: $sgpr23
.LBB3_66:                               ;   in Loop: Header=BB3_39 Depth=1
	global_load_dwordx2 v[14:15], v7, s[4:5]
	s_add_i32 s23, s22, -8
	s_add_u32 s4, s4, 8
	s_addc_u32 s5, s5, 0
.LBB3_67:                               ;   in Loop: Header=BB3_39 Depth=1
	s_cmp_gt_u32 s23, 7
	s_cbranch_scc1 .LBB3_72
; %bb.68:                               ;   in Loop: Header=BB3_39 Depth=1
	v_mov_b32_e32 v16, 0
	v_mov_b32_e32 v17, 0
	s_cmp_eq_u32 s23, 0
	s_cbranch_scc1 .LBB3_71
; %bb.69:                               ;   in Loop: Header=BB3_39 Depth=1
	s_mov_b64 s[18:19], 0
	s_mov_b64 s[20:21], 0
.LBB3_70:                               ;   Parent Loop BB3_39 Depth=1
                                        ; =>  This Inner Loop Header: Depth=2
	s_add_u32 s24, s4, s20
	s_addc_u32 s25, s5, s21
	s_add_u32 s20, s20, 1
	global_load_ubyte v6, v7, s[24:25]
	s_addc_u32 s21, s21, 0
	s_waitcnt vmcnt(0)
	v_and_b32_e32 v6, 0xffff, v6
	v_lshlrev_b64 v[18:19], s18, v[6:7]
	s_add_u32 s18, s18, 8
	s_addc_u32 s19, s19, 0
	s_cmp_lg_u32 s23, s20
	v_or_b32_e32 v16, v18, v16
	v_or_b32_e32 v17, v19, v17
	s_cbranch_scc1 .LBB3_70
.LBB3_71:                               ;   in Loop: Header=BB3_39 Depth=1
	s_mov_b32 s22, 0
	s_cbranch_execz .LBB3_73
	s_branch .LBB3_74
.LBB3_72:                               ;   in Loop: Header=BB3_39 Depth=1
                                        ; implicit-def: $sgpr22
.LBB3_73:                               ;   in Loop: Header=BB3_39 Depth=1
	global_load_dwordx2 v[16:17], v7, s[4:5]
	s_add_i32 s22, s23, -8
	s_add_u32 s4, s4, 8
	s_addc_u32 s5, s5, 0
.LBB3_74:                               ;   in Loop: Header=BB3_39 Depth=1
	s_cmp_gt_u32 s22, 7
	s_cbranch_scc1 .LBB3_79
; %bb.75:                               ;   in Loop: Header=BB3_39 Depth=1
	v_mov_b32_e32 v18, 0
	v_mov_b32_e32 v19, 0
	s_cmp_eq_u32 s22, 0
	s_cbranch_scc1 .LBB3_78
; %bb.76:                               ;   in Loop: Header=BB3_39 Depth=1
	s_mov_b64 s[18:19], 0
	s_mov_b64 s[20:21], 0
.LBB3_77:                               ;   Parent Loop BB3_39 Depth=1
                                        ; =>  This Inner Loop Header: Depth=2
	s_add_u32 s24, s4, s20
	s_addc_u32 s25, s5, s21
	s_add_u32 s20, s20, 1
	global_load_ubyte v6, v7, s[24:25]
	s_addc_u32 s21, s21, 0
	s_waitcnt vmcnt(0)
	v_and_b32_e32 v6, 0xffff, v6
	v_lshlrev_b64 v[20:21], s18, v[6:7]
	s_add_u32 s18, s18, 8
	s_addc_u32 s19, s19, 0
	s_cmp_lg_u32 s22, s20
	v_or_b32_e32 v18, v20, v18
	v_or_b32_e32 v19, v21, v19
	s_cbranch_scc1 .LBB3_77
.LBB3_78:                               ;   in Loop: Header=BB3_39 Depth=1
	s_mov_b32 s23, 0
	s_cbranch_execz .LBB3_80
	s_branch .LBB3_81
.LBB3_79:                               ;   in Loop: Header=BB3_39 Depth=1
                                        ; implicit-def: $vgpr18_vgpr19
                                        ; implicit-def: $sgpr23
.LBB3_80:                               ;   in Loop: Header=BB3_39 Depth=1
	global_load_dwordx2 v[18:19], v7, s[4:5]
	s_add_i32 s23, s22, -8
	s_add_u32 s4, s4, 8
	s_addc_u32 s5, s5, 0
.LBB3_81:                               ;   in Loop: Header=BB3_39 Depth=1
	s_cmp_gt_u32 s23, 7
	s_cbranch_scc1 .LBB3_86
; %bb.82:                               ;   in Loop: Header=BB3_39 Depth=1
	v_mov_b32_e32 v20, 0
	v_mov_b32_e32 v21, 0
	s_cmp_eq_u32 s23, 0
	s_cbranch_scc1 .LBB3_85
; %bb.83:                               ;   in Loop: Header=BB3_39 Depth=1
	s_mov_b64 s[18:19], 0
	s_mov_b64 s[20:21], s[4:5]
.LBB3_84:                               ;   Parent Loop BB3_39 Depth=1
                                        ; =>  This Inner Loop Header: Depth=2
	global_load_ubyte v6, v7, s[20:21]
	s_add_i32 s23, s23, -1
	s_waitcnt vmcnt(0)
	v_and_b32_e32 v6, 0xffff, v6
	v_lshlrev_b64 v[22:23], s18, v[6:7]
	s_add_u32 s18, s18, 8
	s_addc_u32 s19, s19, 0
	s_add_u32 s20, s20, 1
	s_addc_u32 s21, s21, 0
	s_cmp_lg_u32 s23, 0
	v_or_b32_e32 v20, v22, v20
	v_or_b32_e32 v21, v23, v21
	s_cbranch_scc1 .LBB3_84
.LBB3_85:                               ;   in Loop: Header=BB3_39 Depth=1
	s_cbranch_execz .LBB3_87
	s_branch .LBB3_88
.LBB3_86:                               ;   in Loop: Header=BB3_39 Depth=1
.LBB3_87:                               ;   in Loop: Header=BB3_39 Depth=1
	global_load_dwordx2 v[20:21], v7, s[4:5]
.LBB3_88:                               ;   in Loop: Header=BB3_39 Depth=1
	v_readfirstlane_b32 s4, v50
	v_mov_b32_e32 v26, 0
	v_mov_b32_e32 v27, 0
	v_cmp_eq_u32_e64 s4, s4, v50
	s_and_saveexec_b32 s5, s4
	s_cbranch_execz .LBB3_94
; %bb.89:                               ;   in Loop: Header=BB3_39 Depth=1
	global_load_dwordx2 v[24:25], v7, s[26:27] offset:24 glc dlc
	s_waitcnt vmcnt(0)
	buffer_gl1_inv
	buffer_gl0_inv
	s_clause 0x1
	global_load_dwordx2 v[22:23], v7, s[26:27] offset:40
	global_load_dwordx2 v[26:27], v7, s[26:27]
	s_mov_b32 s18, exec_lo
	s_waitcnt vmcnt(1)
	v_and_b32_e32 v6, v23, v25
	v_and_b32_e32 v22, v22, v24
	v_mul_lo_u32 v6, v6, 24
	v_mul_hi_u32 v23, v22, 24
	v_mul_lo_u32 v22, v22, 24
	v_add_nc_u32_e32 v6, v23, v6
	s_waitcnt vmcnt(0)
	v_add_co_u32 v22, vcc_lo, v26, v22
	v_add_co_ci_u32_e32 v23, vcc_lo, v27, v6, vcc_lo
	global_load_dwordx2 v[22:23], v[22:23], off glc dlc
	s_waitcnt vmcnt(0)
	global_atomic_cmpswap_x2 v[26:27], v7, v[22:25], s[26:27] offset:24 glc
	s_waitcnt vmcnt(0)
	buffer_gl1_inv
	buffer_gl0_inv
	v_cmpx_ne_u64_e64 v[26:27], v[24:25]
	s_cbranch_execz .LBB3_93
; %bb.90:                               ;   in Loop: Header=BB3_39 Depth=1
	s_mov_b32 s19, 0
	.p2align	6
.LBB3_91:                               ;   Parent Loop BB3_39 Depth=1
                                        ; =>  This Inner Loop Header: Depth=2
	s_sleep 1
	s_clause 0x1
	global_load_dwordx2 v[22:23], v7, s[26:27] offset:40
	global_load_dwordx2 v[29:30], v7, s[26:27]
	v_mov_b32_e32 v24, v26
	v_mov_b32_e32 v25, v27
	s_waitcnt vmcnt(1)
	v_and_b32_e32 v6, v22, v24
	v_and_b32_e32 v22, v23, v25
	s_waitcnt vmcnt(0)
	v_mad_u64_u32 v[26:27], null, v6, 24, v[29:30]
	v_mov_b32_e32 v6, v27
	v_mad_u64_u32 v[22:23], null, v22, 24, v[6:7]
	v_mov_b32_e32 v27, v22
	global_load_dwordx2 v[22:23], v[26:27], off glc dlc
	s_waitcnt vmcnt(0)
	global_atomic_cmpswap_x2 v[26:27], v7, v[22:25], s[26:27] offset:24 glc
	s_waitcnt vmcnt(0)
	buffer_gl1_inv
	buffer_gl0_inv
	v_cmp_eq_u64_e32 vcc_lo, v[26:27], v[24:25]
	s_or_b32 s19, vcc_lo, s19
	s_andn2_b32 exec_lo, exec_lo, s19
	s_cbranch_execnz .LBB3_91
; %bb.92:                               ;   in Loop: Header=BB3_39 Depth=1
	s_or_b32 exec_lo, exec_lo, s19
.LBB3_93:                               ;   in Loop: Header=BB3_39 Depth=1
	s_or_b32 exec_lo, exec_lo, s18
.LBB3_94:                               ;   in Loop: Header=BB3_39 Depth=1
	s_or_b32 exec_lo, exec_lo, s5
	s_clause 0x1
	global_load_dwordx2 v[29:30], v7, s[26:27] offset:40
	global_load_dwordx4 v[22:25], v7, s[26:27]
	v_readfirstlane_b32 s18, v26
	v_readfirstlane_b32 s19, v27
	s_mov_b32 s5, exec_lo
	s_waitcnt vmcnt(1)
	v_readfirstlane_b32 s20, v29
	v_readfirstlane_b32 s21, v30
	s_and_b64 s[20:21], s[18:19], s[20:21]
	s_mul_i32 s22, s21, 24
	s_mul_hi_u32 s23, s20, 24
	s_mul_i32 s24, s20, 24
	s_add_i32 s23, s23, s22
	s_waitcnt vmcnt(0)
	v_add_co_u32 v26, vcc_lo, v22, s24
	v_add_co_ci_u32_e32 v27, vcc_lo, s23, v23, vcc_lo
	s_and_saveexec_b32 s22, s4
	s_cbranch_execz .LBB3_96
; %bb.95:                               ;   in Loop: Header=BB3_39 Depth=1
	v_mov_b32_e32 v6, s5
	global_store_dwordx4 v[26:27], v[6:9], off offset:8
.LBB3_96:                               ;   in Loop: Header=BB3_39 Depth=1
	s_or_b32 exec_lo, exec_lo, s22
	s_lshl_b64 s[20:21], s[20:21], 12
	v_cmp_gt_u64_e64 vcc_lo, s[10:11], 56
	v_or_b32_e32 v29, v0, v28
	v_add_co_u32 v24, s5, v24, s20
	v_add_co_ci_u32_e64 v25, s5, s21, v25, s5
	s_lshl_b32 s5, s16, 2
	v_or_b32_e32 v6, 0, v1
	v_cndmask_b32_e32 v0, v29, v0, vcc_lo
	s_add_i32 s5, s5, 28
	v_readfirstlane_b32 s20, v24
	s_and_b32 s5, s5, 0x1e0
	v_cndmask_b32_e32 v1, v6, v1, vcc_lo
	v_readfirstlane_b32 s21, v25
	v_and_or_b32 v0, 0xffffff1f, v0, s5
	global_store_dwordx4 v39, v[0:3], s[20:21]
	global_store_dwordx4 v39, v[10:13], s[20:21] offset:16
	global_store_dwordx4 v39, v[14:17], s[20:21] offset:32
	;; [unrolled: 1-line block ×3, first 2 shown]
	s_and_saveexec_b32 s5, s4
	s_cbranch_execz .LBB3_104
; %bb.97:                               ;   in Loop: Header=BB3_39 Depth=1
	s_clause 0x1
	global_load_dwordx2 v[14:15], v7, s[26:27] offset:32 glc dlc
	global_load_dwordx2 v[0:1], v7, s[26:27] offset:40
	v_mov_b32_e32 v12, s18
	v_mov_b32_e32 v13, s19
	s_waitcnt vmcnt(0)
	v_readfirstlane_b32 s20, v0
	v_readfirstlane_b32 s21, v1
	s_and_b64 s[20:21], s[20:21], s[18:19]
	s_mul_i32 s21, s21, 24
	s_mul_hi_u32 s22, s20, 24
	s_mul_i32 s20, s20, 24
	s_add_i32 s22, s22, s21
	v_add_co_u32 v10, vcc_lo, v22, s20
	v_add_co_ci_u32_e32 v11, vcc_lo, s22, v23, vcc_lo
	s_mov_b32 s20, exec_lo
	global_store_dwordx2 v[10:11], v[14:15], off
	s_waitcnt_vscnt null, 0x0
	global_atomic_cmpswap_x2 v[2:3], v7, v[12:15], s[26:27] offset:32 glc
	s_waitcnt vmcnt(0)
	v_cmpx_ne_u64_e64 v[2:3], v[14:15]
	s_cbranch_execz .LBB3_100
; %bb.98:                               ;   in Loop: Header=BB3_39 Depth=1
	s_mov_b32 s21, 0
.LBB3_99:                               ;   Parent Loop BB3_39 Depth=1
                                        ; =>  This Inner Loop Header: Depth=2
	v_mov_b32_e32 v0, s18
	v_mov_b32_e32 v1, s19
	s_sleep 1
	global_store_dwordx2 v[10:11], v[2:3], off
	s_waitcnt_vscnt null, 0x0
	global_atomic_cmpswap_x2 v[0:1], v7, v[0:3], s[26:27] offset:32 glc
	s_waitcnt vmcnt(0)
	v_cmp_eq_u64_e32 vcc_lo, v[0:1], v[2:3]
	v_mov_b32_e32 v3, v1
	v_mov_b32_e32 v2, v0
	s_or_b32 s21, vcc_lo, s21
	s_andn2_b32 exec_lo, exec_lo, s21
	s_cbranch_execnz .LBB3_99
.LBB3_100:                              ;   in Loop: Header=BB3_39 Depth=1
	s_or_b32 exec_lo, exec_lo, s20
	global_load_dwordx2 v[0:1], v7, s[26:27] offset:16
	s_mov_b32 s21, exec_lo
	s_mov_b32 s20, exec_lo
	v_mbcnt_lo_u32_b32 v2, s21, 0
	v_cmpx_eq_u32_e32 0, v2
	s_cbranch_execz .LBB3_102
; %bb.101:                              ;   in Loop: Header=BB3_39 Depth=1
	s_bcnt1_i32_b32 s21, s21
	v_mov_b32_e32 v6, s21
	s_waitcnt vmcnt(0)
	global_atomic_add_x2 v[0:1], v[6:7], off offset:8
.LBB3_102:                              ;   in Loop: Header=BB3_39 Depth=1
	s_or_b32 exec_lo, exec_lo, s20
	s_waitcnt vmcnt(0)
	global_load_dwordx2 v[2:3], v[0:1], off offset:16
	s_waitcnt vmcnt(0)
	v_cmp_eq_u64_e32 vcc_lo, 0, v[2:3]
	s_cbranch_vccnz .LBB3_104
; %bb.103:                              ;   in Loop: Header=BB3_39 Depth=1
	global_load_dword v6, v[0:1], off offset:24
	s_waitcnt vmcnt(0)
	v_and_b32_e32 v0, 0x7fffff, v6
	s_waitcnt_vscnt null, 0x0
	global_store_dwordx2 v[2:3], v[6:7], off
	v_readfirstlane_b32 m0, v0
	s_sendmsg sendmsg(MSG_INTERRUPT)
.LBB3_104:                              ;   in Loop: Header=BB3_39 Depth=1
	s_or_b32 exec_lo, exec_lo, s5
	v_add_co_u32 v0, vcc_lo, v24, v39
	v_add_co_ci_u32_e32 v1, vcc_lo, 0, v25, vcc_lo
	s_branch .LBB3_108
	.p2align	6
.LBB3_105:                              ;   in Loop: Header=BB3_108 Depth=2
	s_or_b32 exec_lo, exec_lo, s5
	v_readfirstlane_b32 s5, v2
	s_cmp_eq_u32 s5, 0
	s_cbranch_scc1 .LBB3_107
; %bb.106:                              ;   in Loop: Header=BB3_108 Depth=2
	s_sleep 1
	s_cbranch_execnz .LBB3_108
	s_branch .LBB3_110
	.p2align	6
.LBB3_107:                              ;   in Loop: Header=BB3_39 Depth=1
	s_branch .LBB3_110
.LBB3_108:                              ;   Parent Loop BB3_39 Depth=1
                                        ; =>  This Inner Loop Header: Depth=2
	v_mov_b32_e32 v2, 1
	s_and_saveexec_b32 s5, s4
	s_cbranch_execz .LBB3_105
; %bb.109:                              ;   in Loop: Header=BB3_108 Depth=2
	global_load_dword v2, v[26:27], off offset:20 glc dlc
	s_waitcnt vmcnt(0)
	buffer_gl1_inv
	buffer_gl0_inv
	v_and_b32_e32 v2, 1, v2
	s_branch .LBB3_105
.LBB3_110:                              ;   in Loop: Header=BB3_39 Depth=1
	global_load_dwordx4 v[0:3], v[0:1], off
	s_and_saveexec_b32 s5, s4
	s_cbranch_execz .LBB3_38
; %bb.111:                              ;   in Loop: Header=BB3_39 Depth=1
	s_clause 0x2
	global_load_dwordx2 v[2:3], v7, s[26:27] offset:40
	global_load_dwordx2 v[14:15], v7, s[26:27] offset:24 glc dlc
	global_load_dwordx2 v[12:13], v7, s[26:27]
	s_waitcnt vmcnt(2)
	v_add_co_u32 v6, vcc_lo, v2, 1
	v_add_co_ci_u32_e32 v16, vcc_lo, 0, v3, vcc_lo
	v_add_co_u32 v10, vcc_lo, v6, s18
	v_add_co_ci_u32_e32 v11, vcc_lo, s19, v16, vcc_lo
	v_cmp_eq_u64_e32 vcc_lo, 0, v[10:11]
	v_cndmask_b32_e32 v11, v11, v16, vcc_lo
	v_cndmask_b32_e32 v10, v10, v6, vcc_lo
	v_and_b32_e32 v3, v11, v3
	v_and_b32_e32 v2, v10, v2
	v_mul_lo_u32 v3, v3, 24
	v_mul_hi_u32 v6, v2, 24
	v_mul_lo_u32 v2, v2, 24
	v_add_nc_u32_e32 v3, v6, v3
	s_waitcnt vmcnt(0)
	v_add_co_u32 v2, vcc_lo, v12, v2
	v_mov_b32_e32 v12, v14
	v_add_co_ci_u32_e32 v3, vcc_lo, v13, v3, vcc_lo
	v_mov_b32_e32 v13, v15
	global_store_dwordx2 v[2:3], v[14:15], off
	s_waitcnt_vscnt null, 0x0
	global_atomic_cmpswap_x2 v[12:13], v7, v[10:13], s[26:27] offset:24 glc
	s_waitcnt vmcnt(0)
	v_cmp_ne_u64_e32 vcc_lo, v[12:13], v[14:15]
	s_and_b32 exec_lo, exec_lo, vcc_lo
	s_cbranch_execz .LBB3_38
; %bb.112:                              ;   in Loop: Header=BB3_39 Depth=1
	s_mov_b32 s4, 0
.LBB3_113:                              ;   Parent Loop BB3_39 Depth=1
                                        ; =>  This Inner Loop Header: Depth=2
	s_sleep 1
	global_store_dwordx2 v[2:3], v[12:13], off
	s_waitcnt_vscnt null, 0x0
	global_atomic_cmpswap_x2 v[14:15], v7, v[10:13], s[26:27] offset:24 glc
	s_waitcnt vmcnt(0)
	v_cmp_eq_u64_e32 vcc_lo, v[14:15], v[12:13]
	v_mov_b32_e32 v12, v14
	v_mov_b32_e32 v13, v15
	s_or_b32 s4, vcc_lo, s4
	s_andn2_b32 exec_lo, exec_lo, s4
	s_cbranch_execnz .LBB3_113
	s_branch .LBB3_38
.LBB3_114:
	s_branch .LBB3_143
.LBB3_115:
                                        ; implicit-def: $vgpr0_vgpr1
	s_cbranch_execz .LBB3_143
; %bb.116:
	v_readfirstlane_b32 s4, v50
	v_mov_b32_e32 v7, 0
	v_mov_b32_e32 v8, 0
	v_cmp_eq_u32_e64 s4, s4, v50
	s_and_saveexec_b32 s5, s4
	s_cbranch_execz .LBB3_122
; %bb.117:
	s_waitcnt vmcnt(0)
	v_mov_b32_e32 v0, 0
	s_mov_b32 s6, exec_lo
	global_load_dwordx2 v[9:10], v0, s[26:27] offset:24 glc dlc
	s_waitcnt vmcnt(0)
	buffer_gl1_inv
	buffer_gl0_inv
	s_clause 0x1
	global_load_dwordx2 v[1:2], v0, s[26:27] offset:40
	global_load_dwordx2 v[6:7], v0, s[26:27]
	s_waitcnt vmcnt(1)
	v_and_b32_e32 v2, v2, v10
	v_and_b32_e32 v1, v1, v9
	v_mul_lo_u32 v2, v2, 24
	v_mul_hi_u32 v3, v1, 24
	v_mul_lo_u32 v1, v1, 24
	v_add_nc_u32_e32 v2, v3, v2
	s_waitcnt vmcnt(0)
	v_add_co_u32 v1, vcc_lo, v6, v1
	v_add_co_ci_u32_e32 v2, vcc_lo, v7, v2, vcc_lo
	global_load_dwordx2 v[7:8], v[1:2], off glc dlc
	s_waitcnt vmcnt(0)
	global_atomic_cmpswap_x2 v[7:8], v0, v[7:10], s[26:27] offset:24 glc
	s_waitcnt vmcnt(0)
	buffer_gl1_inv
	buffer_gl0_inv
	v_cmpx_ne_u64_e64 v[7:8], v[9:10]
	s_cbranch_execz .LBB3_121
; %bb.118:
	s_mov_b32 s7, 0
	.p2align	6
.LBB3_119:                              ; =>This Inner Loop Header: Depth=1
	s_sleep 1
	s_clause 0x1
	global_load_dwordx2 v[1:2], v0, s[26:27] offset:40
	global_load_dwordx2 v[11:12], v0, s[26:27]
	v_mov_b32_e32 v10, v8
	v_mov_b32_e32 v9, v7
	s_waitcnt vmcnt(1)
	v_and_b32_e32 v1, v1, v9
	v_and_b32_e32 v2, v2, v10
	s_waitcnt vmcnt(0)
	v_mad_u64_u32 v[6:7], null, v1, 24, v[11:12]
	v_mov_b32_e32 v1, v7
	v_mad_u64_u32 v[1:2], null, v2, 24, v[1:2]
	v_mov_b32_e32 v7, v1
	global_load_dwordx2 v[7:8], v[6:7], off glc dlc
	s_waitcnt vmcnt(0)
	global_atomic_cmpswap_x2 v[7:8], v0, v[7:10], s[26:27] offset:24 glc
	s_waitcnt vmcnt(0)
	buffer_gl1_inv
	buffer_gl0_inv
	v_cmp_eq_u64_e32 vcc_lo, v[7:8], v[9:10]
	s_or_b32 s7, vcc_lo, s7
	s_andn2_b32 exec_lo, exec_lo, s7
	s_cbranch_execnz .LBB3_119
; %bb.120:
	s_or_b32 exec_lo, exec_lo, s7
.LBB3_121:
	s_or_b32 exec_lo, exec_lo, s6
.LBB3_122:
	s_or_b32 exec_lo, exec_lo, s5
	v_mov_b32_e32 v6, 0
	v_readfirstlane_b32 s6, v7
	v_readfirstlane_b32 s7, v8
	s_mov_b32 s5, exec_lo
	s_clause 0x1
	global_load_dwordx2 v[9:10], v6, s[26:27] offset:40
	global_load_dwordx4 v[0:3], v6, s[26:27]
	s_waitcnt vmcnt(1)
	v_readfirstlane_b32 s10, v9
	v_readfirstlane_b32 s11, v10
	s_and_b64 s[10:11], s[6:7], s[10:11]
	s_mul_i32 s16, s11, 24
	s_mul_hi_u32 s17, s10, 24
	s_mul_i32 s18, s10, 24
	s_add_i32 s17, s17, s16
	s_waitcnt vmcnt(0)
	v_add_co_u32 v8, vcc_lo, v0, s18
	v_add_co_ci_u32_e32 v9, vcc_lo, s17, v1, vcc_lo
	s_and_saveexec_b32 s16, s4
	s_cbranch_execz .LBB3_124
; %bb.123:
	v_mov_b32_e32 v10, s5
	v_mov_b32_e32 v11, v6
	;; [unrolled: 1-line block ×4, first 2 shown]
	global_store_dwordx4 v[8:9], v[10:13], off offset:8
.LBB3_124:
	s_or_b32 exec_lo, exec_lo, s16
	s_lshl_b64 s[10:11], s[10:11], 12
	s_mov_b32 s16, 0
	v_add_co_u32 v2, vcc_lo, v2, s10
	v_add_co_ci_u32_e32 v3, vcc_lo, s11, v3, vcc_lo
	s_mov_b32 s17, s16
	v_add_co_u32 v10, vcc_lo, v2, v39
	s_mov_b32 s18, s16
	s_mov_b32 s19, s16
	v_and_or_b32 v4, 0xffffff1f, v4, 32
	v_mov_b32_e32 v7, v6
	v_readfirstlane_b32 s10, v2
	v_readfirstlane_b32 s11, v3
	v_mov_b32_e32 v12, s16
	v_add_co_ci_u32_e32 v11, vcc_lo, 0, v3, vcc_lo
	v_mov_b32_e32 v13, s17
	v_mov_b32_e32 v14, s18
	;; [unrolled: 1-line block ×3, first 2 shown]
	global_store_dwordx4 v39, v[4:7], s[10:11]
	global_store_dwordx4 v39, v[12:15], s[10:11] offset:16
	global_store_dwordx4 v39, v[12:15], s[10:11] offset:32
	global_store_dwordx4 v39, v[12:15], s[10:11] offset:48
	s_and_saveexec_b32 s5, s4
	s_cbranch_execz .LBB3_132
; %bb.125:
	v_mov_b32_e32 v6, 0
	v_mov_b32_e32 v12, s6
	;; [unrolled: 1-line block ×3, first 2 shown]
	s_clause 0x1
	global_load_dwordx2 v[14:15], v6, s[26:27] offset:32 glc dlc
	global_load_dwordx2 v[2:3], v6, s[26:27] offset:40
	s_waitcnt vmcnt(0)
	v_readfirstlane_b32 s10, v2
	v_readfirstlane_b32 s11, v3
	s_and_b64 s[10:11], s[10:11], s[6:7]
	s_mul_i32 s11, s11, 24
	s_mul_hi_u32 s16, s10, 24
	s_mul_i32 s10, s10, 24
	s_add_i32 s16, s16, s11
	v_add_co_u32 v4, vcc_lo, v0, s10
	v_add_co_ci_u32_e32 v5, vcc_lo, s16, v1, vcc_lo
	s_mov_b32 s10, exec_lo
	global_store_dwordx2 v[4:5], v[14:15], off
	s_waitcnt_vscnt null, 0x0
	global_atomic_cmpswap_x2 v[2:3], v6, v[12:15], s[26:27] offset:32 glc
	s_waitcnt vmcnt(0)
	v_cmpx_ne_u64_e64 v[2:3], v[14:15]
	s_cbranch_execz .LBB3_128
; %bb.126:
	s_mov_b32 s11, 0
.LBB3_127:                              ; =>This Inner Loop Header: Depth=1
	v_mov_b32_e32 v0, s6
	v_mov_b32_e32 v1, s7
	s_sleep 1
	global_store_dwordx2 v[4:5], v[2:3], off
	s_waitcnt_vscnt null, 0x0
	global_atomic_cmpswap_x2 v[0:1], v6, v[0:3], s[26:27] offset:32 glc
	s_waitcnt vmcnt(0)
	v_cmp_eq_u64_e32 vcc_lo, v[0:1], v[2:3]
	v_mov_b32_e32 v3, v1
	v_mov_b32_e32 v2, v0
	s_or_b32 s11, vcc_lo, s11
	s_andn2_b32 exec_lo, exec_lo, s11
	s_cbranch_execnz .LBB3_127
.LBB3_128:
	s_or_b32 exec_lo, exec_lo, s10
	v_mov_b32_e32 v3, 0
	s_mov_b32 s11, exec_lo
	s_mov_b32 s10, exec_lo
	v_mbcnt_lo_u32_b32 v2, s11, 0
	global_load_dwordx2 v[0:1], v3, s[26:27] offset:16
	v_cmpx_eq_u32_e32 0, v2
	s_cbranch_execz .LBB3_130
; %bb.129:
	s_bcnt1_i32_b32 s11, s11
	v_mov_b32_e32 v2, s11
	s_waitcnt vmcnt(0)
	global_atomic_add_x2 v[0:1], v[2:3], off offset:8
.LBB3_130:
	s_or_b32 exec_lo, exec_lo, s10
	s_waitcnt vmcnt(0)
	global_load_dwordx2 v[2:3], v[0:1], off offset:16
	s_waitcnt vmcnt(0)
	v_cmp_eq_u64_e32 vcc_lo, 0, v[2:3]
	s_cbranch_vccnz .LBB3_132
; %bb.131:
	global_load_dword v0, v[0:1], off offset:24
	v_mov_b32_e32 v1, 0
	s_waitcnt vmcnt(0)
	v_and_b32_e32 v4, 0x7fffff, v0
	s_waitcnt_vscnt null, 0x0
	global_store_dwordx2 v[2:3], v[0:1], off
	v_readfirstlane_b32 m0, v4
	s_sendmsg sendmsg(MSG_INTERRUPT)
.LBB3_132:
	s_or_b32 exec_lo, exec_lo, s5
	s_branch .LBB3_136
	.p2align	6
.LBB3_133:                              ;   in Loop: Header=BB3_136 Depth=1
	s_or_b32 exec_lo, exec_lo, s5
	v_readfirstlane_b32 s5, v0
	s_cmp_eq_u32 s5, 0
	s_cbranch_scc1 .LBB3_135
; %bb.134:                              ;   in Loop: Header=BB3_136 Depth=1
	s_sleep 1
	s_cbranch_execnz .LBB3_136
	s_branch .LBB3_138
	.p2align	6
.LBB3_135:
	s_branch .LBB3_138
.LBB3_136:                              ; =>This Inner Loop Header: Depth=1
	v_mov_b32_e32 v0, 1
	s_and_saveexec_b32 s5, s4
	s_cbranch_execz .LBB3_133
; %bb.137:                              ;   in Loop: Header=BB3_136 Depth=1
	global_load_dword v0, v[8:9], off offset:20 glc dlc
	s_waitcnt vmcnt(0)
	buffer_gl1_inv
	buffer_gl0_inv
	v_and_b32_e32 v0, 1, v0
	s_branch .LBB3_133
.LBB3_138:
	global_load_dwordx2 v[0:1], v[10:11], off
	s_and_saveexec_b32 s5, s4
	s_cbranch_execz .LBB3_142
; %bb.139:
	v_mov_b32_e32 v8, 0
	s_clause 0x2
	global_load_dwordx2 v[4:5], v8, s[26:27] offset:40
	global_load_dwordx2 v[9:10], v8, s[26:27] offset:24 glc dlc
	global_load_dwordx2 v[6:7], v8, s[26:27]
	s_waitcnt vmcnt(2)
	v_add_co_u32 v11, vcc_lo, v4, 1
	v_add_co_ci_u32_e32 v12, vcc_lo, 0, v5, vcc_lo
	v_add_co_u32 v2, vcc_lo, v11, s6
	v_add_co_ci_u32_e32 v3, vcc_lo, s7, v12, vcc_lo
	v_cmp_eq_u64_e32 vcc_lo, 0, v[2:3]
	v_cndmask_b32_e32 v3, v3, v12, vcc_lo
	v_cndmask_b32_e32 v2, v2, v11, vcc_lo
	v_and_b32_e32 v5, v3, v5
	v_and_b32_e32 v4, v2, v4
	v_mul_lo_u32 v5, v5, 24
	v_mul_hi_u32 v11, v4, 24
	v_mul_lo_u32 v4, v4, 24
	v_add_nc_u32_e32 v5, v11, v5
	s_waitcnt vmcnt(0)
	v_add_co_u32 v6, vcc_lo, v6, v4
	v_mov_b32_e32 v4, v9
	v_add_co_ci_u32_e32 v7, vcc_lo, v7, v5, vcc_lo
	v_mov_b32_e32 v5, v10
	global_store_dwordx2 v[6:7], v[9:10], off
	s_waitcnt_vscnt null, 0x0
	global_atomic_cmpswap_x2 v[4:5], v8, v[2:5], s[26:27] offset:24 glc
	s_waitcnt vmcnt(0)
	v_cmp_ne_u64_e32 vcc_lo, v[4:5], v[9:10]
	s_and_b32 exec_lo, exec_lo, vcc_lo
	s_cbranch_execz .LBB3_142
; %bb.140:
	s_mov_b32 s4, 0
.LBB3_141:                              ; =>This Inner Loop Header: Depth=1
	s_sleep 1
	global_store_dwordx2 v[6:7], v[4:5], off
	s_waitcnt_vscnt null, 0x0
	global_atomic_cmpswap_x2 v[9:10], v8, v[2:5], s[26:27] offset:24 glc
	s_waitcnt vmcnt(0)
	v_cmp_eq_u64_e32 vcc_lo, v[9:10], v[4:5]
	v_mov_b32_e32 v4, v9
	v_mov_b32_e32 v5, v10
	s_or_b32 s4, vcc_lo, s4
	s_andn2_b32 exec_lo, exec_lo, s4
	s_cbranch_execnz .LBB3_141
.LBB3_142:
	s_or_b32 exec_lo, exec_lo, s5
.LBB3_143:
	s_getpc_b64 s[6:7]
	s_add_u32 s6, s6, __PRETTY_FUNCTION__._ZL37search_pattern_appears_multiple_timesRN8migraphx4test12test_managerE@rel32@lo+4
	s_addc_u32 s7, s7, __PRETTY_FUNCTION__._ZL37search_pattern_appears_multiple_timesRN8migraphx4test12test_managerE@rel32@hi+12
	s_cmp_lg_u64 s[6:7], 0
	s_cbranch_scc0 .LBB3_222
; %bb.144:
	s_waitcnt vmcnt(0)
	v_and_b32_e32 v6, -3, v0
	v_mov_b32_e32 v7, v1
	v_mov_b32_e32 v3, 0
	;; [unrolled: 1-line block ×4, first 2 shown]
	s_mov_b64 s[10:11], 0x4b
	s_branch .LBB3_146
.LBB3_145:                              ;   in Loop: Header=BB3_146 Depth=1
	s_or_b32 exec_lo, exec_lo, s5
	s_sub_u32 s10, s10, s16
	s_subb_u32 s11, s11, s17
	s_add_u32 s6, s6, s16
	s_addc_u32 s7, s7, s17
	s_cmp_lg_u64 s[10:11], 0
	s_cbranch_scc0 .LBB3_221
.LBB3_146:                              ; =>This Loop Header: Depth=1
                                        ;     Child Loop BB3_155 Depth 2
                                        ;     Child Loop BB3_151 Depth 2
	;; [unrolled: 1-line block ×11, first 2 shown]
	v_cmp_lt_u64_e64 s4, s[10:11], 56
	v_cmp_gt_u64_e64 s5, s[10:11], 7
                                        ; implicit-def: $sgpr22
	s_and_b32 s4, s4, exec_lo
	s_cselect_b32 s17, s11, 0
	s_cselect_b32 s16, s10, 56
	s_and_b32 vcc_lo, exec_lo, s5
	s_mov_b32 s4, -1
	s_cbranch_vccz .LBB3_153
; %bb.147:                              ;   in Loop: Header=BB3_146 Depth=1
	s_andn2_b32 vcc_lo, exec_lo, s4
	s_mov_b64 s[4:5], s[6:7]
	s_cbranch_vccz .LBB3_157
.LBB3_148:                              ;   in Loop: Header=BB3_146 Depth=1
	s_cmp_gt_u32 s22, 7
	s_cbranch_scc1 .LBB3_158
.LBB3_149:                              ;   in Loop: Header=BB3_146 Depth=1
	v_mov_b32_e32 v10, 0
	v_mov_b32_e32 v11, 0
	s_cmp_eq_u32 s22, 0
	s_cbranch_scc1 .LBB3_152
; %bb.150:                              ;   in Loop: Header=BB3_146 Depth=1
	s_mov_b64 s[18:19], 0
	s_mov_b64 s[20:21], 0
.LBB3_151:                              ;   Parent Loop BB3_146 Depth=1
                                        ; =>  This Inner Loop Header: Depth=2
	s_add_u32 s24, s4, s20
	s_addc_u32 s25, s5, s21
	s_add_u32 s20, s20, 1
	global_load_ubyte v2, v3, s[24:25]
	s_addc_u32 s21, s21, 0
	s_waitcnt vmcnt(0)
	v_and_b32_e32 v2, 0xffff, v2
	v_lshlrev_b64 v[12:13], s18, v[2:3]
	s_add_u32 s18, s18, 8
	s_addc_u32 s19, s19, 0
	s_cmp_lg_u32 s22, s20
	v_or_b32_e32 v10, v12, v10
	v_or_b32_e32 v11, v13, v11
	s_cbranch_scc1 .LBB3_151
.LBB3_152:                              ;   in Loop: Header=BB3_146 Depth=1
	s_mov_b32 s23, 0
	s_cbranch_execz .LBB3_159
	s_branch .LBB3_160
.LBB3_153:                              ;   in Loop: Header=BB3_146 Depth=1
	s_waitcnt vmcnt(0)
	v_mov_b32_e32 v8, 0
	v_mov_b32_e32 v9, 0
	s_cmp_eq_u64 s[10:11], 0
	s_mov_b64 s[4:5], 0
	s_cbranch_scc1 .LBB3_156
; %bb.154:                              ;   in Loop: Header=BB3_146 Depth=1
	v_mov_b32_e32 v8, 0
	v_mov_b32_e32 v9, 0
	s_lshl_b64 s[18:19], s[16:17], 3
	s_mov_b64 s[20:21], s[6:7]
.LBB3_155:                              ;   Parent Loop BB3_146 Depth=1
                                        ; =>  This Inner Loop Header: Depth=2
	global_load_ubyte v2, v3, s[20:21]
	s_waitcnt vmcnt(0)
	v_and_b32_e32 v2, 0xffff, v2
	v_lshlrev_b64 v[10:11], s4, v[2:3]
	s_add_u32 s4, s4, 8
	s_addc_u32 s5, s5, 0
	s_add_u32 s20, s20, 1
	s_addc_u32 s21, s21, 0
	s_cmp_lg_u32 s18, s4
	v_or_b32_e32 v8, v10, v8
	v_or_b32_e32 v9, v11, v9
	s_cbranch_scc1 .LBB3_155
.LBB3_156:                              ;   in Loop: Header=BB3_146 Depth=1
	s_mov_b32 s22, 0
	s_mov_b64 s[4:5], s[6:7]
	s_cbranch_execnz .LBB3_148
.LBB3_157:                              ;   in Loop: Header=BB3_146 Depth=1
	global_load_dwordx2 v[8:9], v3, s[6:7]
	s_add_i32 s22, s16, -8
	s_add_u32 s4, s6, 8
	s_addc_u32 s5, s7, 0
	s_cmp_gt_u32 s22, 7
	s_cbranch_scc0 .LBB3_149
.LBB3_158:                              ;   in Loop: Header=BB3_146 Depth=1
                                        ; implicit-def: $vgpr10_vgpr11
                                        ; implicit-def: $sgpr23
.LBB3_159:                              ;   in Loop: Header=BB3_146 Depth=1
	global_load_dwordx2 v[10:11], v3, s[4:5]
	s_add_i32 s23, s22, -8
	s_add_u32 s4, s4, 8
	s_addc_u32 s5, s5, 0
.LBB3_160:                              ;   in Loop: Header=BB3_146 Depth=1
	s_cmp_gt_u32 s23, 7
	s_cbranch_scc1 .LBB3_165
; %bb.161:                              ;   in Loop: Header=BB3_146 Depth=1
	v_mov_b32_e32 v12, 0
	v_mov_b32_e32 v13, 0
	s_cmp_eq_u32 s23, 0
	s_cbranch_scc1 .LBB3_164
; %bb.162:                              ;   in Loop: Header=BB3_146 Depth=1
	s_mov_b64 s[18:19], 0
	s_mov_b64 s[20:21], 0
.LBB3_163:                              ;   Parent Loop BB3_146 Depth=1
                                        ; =>  This Inner Loop Header: Depth=2
	s_add_u32 s24, s4, s20
	s_addc_u32 s25, s5, s21
	s_add_u32 s20, s20, 1
	global_load_ubyte v2, v3, s[24:25]
	s_addc_u32 s21, s21, 0
	s_waitcnt vmcnt(0)
	v_and_b32_e32 v2, 0xffff, v2
	v_lshlrev_b64 v[14:15], s18, v[2:3]
	s_add_u32 s18, s18, 8
	s_addc_u32 s19, s19, 0
	s_cmp_lg_u32 s23, s20
	v_or_b32_e32 v12, v14, v12
	v_or_b32_e32 v13, v15, v13
	s_cbranch_scc1 .LBB3_163
.LBB3_164:                              ;   in Loop: Header=BB3_146 Depth=1
	s_mov_b32 s22, 0
	s_cbranch_execz .LBB3_166
	s_branch .LBB3_167
.LBB3_165:                              ;   in Loop: Header=BB3_146 Depth=1
                                        ; implicit-def: $sgpr22
.LBB3_166:                              ;   in Loop: Header=BB3_146 Depth=1
	global_load_dwordx2 v[12:13], v3, s[4:5]
	s_add_i32 s22, s23, -8
	s_add_u32 s4, s4, 8
	s_addc_u32 s5, s5, 0
.LBB3_167:                              ;   in Loop: Header=BB3_146 Depth=1
	s_cmp_gt_u32 s22, 7
	s_cbranch_scc1 .LBB3_172
; %bb.168:                              ;   in Loop: Header=BB3_146 Depth=1
	v_mov_b32_e32 v14, 0
	v_mov_b32_e32 v15, 0
	s_cmp_eq_u32 s22, 0
	s_cbranch_scc1 .LBB3_171
; %bb.169:                              ;   in Loop: Header=BB3_146 Depth=1
	s_mov_b64 s[18:19], 0
	s_mov_b64 s[20:21], 0
.LBB3_170:                              ;   Parent Loop BB3_146 Depth=1
                                        ; =>  This Inner Loop Header: Depth=2
	s_add_u32 s24, s4, s20
	s_addc_u32 s25, s5, s21
	s_add_u32 s20, s20, 1
	global_load_ubyte v2, v3, s[24:25]
	s_addc_u32 s21, s21, 0
	s_waitcnt vmcnt(0)
	v_and_b32_e32 v2, 0xffff, v2
	v_lshlrev_b64 v[16:17], s18, v[2:3]
	s_add_u32 s18, s18, 8
	s_addc_u32 s19, s19, 0
	s_cmp_lg_u32 s22, s20
	v_or_b32_e32 v14, v16, v14
	v_or_b32_e32 v15, v17, v15
	s_cbranch_scc1 .LBB3_170
.LBB3_171:                              ;   in Loop: Header=BB3_146 Depth=1
	s_mov_b32 s23, 0
	s_cbranch_execz .LBB3_173
	s_branch .LBB3_174
.LBB3_172:                              ;   in Loop: Header=BB3_146 Depth=1
                                        ; implicit-def: $vgpr14_vgpr15
                                        ; implicit-def: $sgpr23
.LBB3_173:                              ;   in Loop: Header=BB3_146 Depth=1
	global_load_dwordx2 v[14:15], v3, s[4:5]
	s_add_i32 s23, s22, -8
	s_add_u32 s4, s4, 8
	s_addc_u32 s5, s5, 0
.LBB3_174:                              ;   in Loop: Header=BB3_146 Depth=1
	s_cmp_gt_u32 s23, 7
	s_cbranch_scc1 .LBB3_179
; %bb.175:                              ;   in Loop: Header=BB3_146 Depth=1
	v_mov_b32_e32 v16, 0
	v_mov_b32_e32 v17, 0
	s_cmp_eq_u32 s23, 0
	s_cbranch_scc1 .LBB3_178
; %bb.176:                              ;   in Loop: Header=BB3_146 Depth=1
	s_mov_b64 s[18:19], 0
	s_mov_b64 s[20:21], 0
.LBB3_177:                              ;   Parent Loop BB3_146 Depth=1
                                        ; =>  This Inner Loop Header: Depth=2
	s_add_u32 s24, s4, s20
	s_addc_u32 s25, s5, s21
	s_add_u32 s20, s20, 1
	global_load_ubyte v2, v3, s[24:25]
	s_addc_u32 s21, s21, 0
	s_waitcnt vmcnt(0)
	v_and_b32_e32 v2, 0xffff, v2
	v_lshlrev_b64 v[18:19], s18, v[2:3]
	s_add_u32 s18, s18, 8
	s_addc_u32 s19, s19, 0
	s_cmp_lg_u32 s23, s20
	v_or_b32_e32 v16, v18, v16
	v_or_b32_e32 v17, v19, v17
	s_cbranch_scc1 .LBB3_177
.LBB3_178:                              ;   in Loop: Header=BB3_146 Depth=1
	s_mov_b32 s22, 0
	s_cbranch_execz .LBB3_180
	s_branch .LBB3_181
.LBB3_179:                              ;   in Loop: Header=BB3_146 Depth=1
                                        ; implicit-def: $sgpr22
.LBB3_180:                              ;   in Loop: Header=BB3_146 Depth=1
	global_load_dwordx2 v[16:17], v3, s[4:5]
	s_add_i32 s22, s23, -8
	s_add_u32 s4, s4, 8
	s_addc_u32 s5, s5, 0
.LBB3_181:                              ;   in Loop: Header=BB3_146 Depth=1
	s_cmp_gt_u32 s22, 7
	s_cbranch_scc1 .LBB3_186
; %bb.182:                              ;   in Loop: Header=BB3_146 Depth=1
	v_mov_b32_e32 v18, 0
	v_mov_b32_e32 v19, 0
	s_cmp_eq_u32 s22, 0
	s_cbranch_scc1 .LBB3_185
; %bb.183:                              ;   in Loop: Header=BB3_146 Depth=1
	s_mov_b64 s[18:19], 0
	s_mov_b64 s[20:21], 0
.LBB3_184:                              ;   Parent Loop BB3_146 Depth=1
                                        ; =>  This Inner Loop Header: Depth=2
	s_add_u32 s24, s4, s20
	s_addc_u32 s25, s5, s21
	s_add_u32 s20, s20, 1
	global_load_ubyte v2, v3, s[24:25]
	s_addc_u32 s21, s21, 0
	s_waitcnt vmcnt(0)
	v_and_b32_e32 v2, 0xffff, v2
	v_lshlrev_b64 v[20:21], s18, v[2:3]
	s_add_u32 s18, s18, 8
	s_addc_u32 s19, s19, 0
	s_cmp_lg_u32 s22, s20
	v_or_b32_e32 v18, v20, v18
	v_or_b32_e32 v19, v21, v19
	s_cbranch_scc1 .LBB3_184
.LBB3_185:                              ;   in Loop: Header=BB3_146 Depth=1
	s_mov_b32 s23, 0
	s_cbranch_execz .LBB3_187
	s_branch .LBB3_188
.LBB3_186:                              ;   in Loop: Header=BB3_146 Depth=1
                                        ; implicit-def: $vgpr18_vgpr19
                                        ; implicit-def: $sgpr23
.LBB3_187:                              ;   in Loop: Header=BB3_146 Depth=1
	global_load_dwordx2 v[18:19], v3, s[4:5]
	s_add_i32 s23, s22, -8
	s_add_u32 s4, s4, 8
	s_addc_u32 s5, s5, 0
.LBB3_188:                              ;   in Loop: Header=BB3_146 Depth=1
	s_cmp_gt_u32 s23, 7
	s_cbranch_scc1 .LBB3_193
; %bb.189:                              ;   in Loop: Header=BB3_146 Depth=1
	v_mov_b32_e32 v20, 0
	v_mov_b32_e32 v21, 0
	s_cmp_eq_u32 s23, 0
	s_cbranch_scc1 .LBB3_192
; %bb.190:                              ;   in Loop: Header=BB3_146 Depth=1
	s_mov_b64 s[18:19], 0
	s_mov_b64 s[20:21], s[4:5]
.LBB3_191:                              ;   Parent Loop BB3_146 Depth=1
                                        ; =>  This Inner Loop Header: Depth=2
	global_load_ubyte v2, v3, s[20:21]
	s_add_i32 s23, s23, -1
	s_waitcnt vmcnt(0)
	v_and_b32_e32 v2, 0xffff, v2
	v_lshlrev_b64 v[22:23], s18, v[2:3]
	s_add_u32 s18, s18, 8
	s_addc_u32 s19, s19, 0
	s_add_u32 s20, s20, 1
	s_addc_u32 s21, s21, 0
	s_cmp_lg_u32 s23, 0
	v_or_b32_e32 v20, v22, v20
	v_or_b32_e32 v21, v23, v21
	s_cbranch_scc1 .LBB3_191
.LBB3_192:                              ;   in Loop: Header=BB3_146 Depth=1
	s_cbranch_execz .LBB3_194
	s_branch .LBB3_195
.LBB3_193:                              ;   in Loop: Header=BB3_146 Depth=1
.LBB3_194:                              ;   in Loop: Header=BB3_146 Depth=1
	global_load_dwordx2 v[20:21], v3, s[4:5]
.LBB3_195:                              ;   in Loop: Header=BB3_146 Depth=1
	v_readfirstlane_b32 s4, v50
	v_mov_b32_e32 v26, 0
	v_mov_b32_e32 v27, 0
	v_cmp_eq_u32_e64 s4, s4, v50
	s_and_saveexec_b32 s5, s4
	s_cbranch_execz .LBB3_201
; %bb.196:                              ;   in Loop: Header=BB3_146 Depth=1
	global_load_dwordx2 v[24:25], v3, s[26:27] offset:24 glc dlc
	s_waitcnt vmcnt(0)
	buffer_gl1_inv
	buffer_gl0_inv
	s_clause 0x1
	global_load_dwordx2 v[22:23], v3, s[26:27] offset:40
	global_load_dwordx2 v[26:27], v3, s[26:27]
	s_mov_b32 s18, exec_lo
	s_waitcnt vmcnt(1)
	v_and_b32_e32 v2, v23, v25
	v_and_b32_e32 v22, v22, v24
	v_mul_lo_u32 v2, v2, 24
	v_mul_hi_u32 v23, v22, 24
	v_mul_lo_u32 v22, v22, 24
	v_add_nc_u32_e32 v2, v23, v2
	s_waitcnt vmcnt(0)
	v_add_co_u32 v22, vcc_lo, v26, v22
	v_add_co_ci_u32_e32 v23, vcc_lo, v27, v2, vcc_lo
	global_load_dwordx2 v[22:23], v[22:23], off glc dlc
	s_waitcnt vmcnt(0)
	global_atomic_cmpswap_x2 v[26:27], v3, v[22:25], s[26:27] offset:24 glc
	s_waitcnt vmcnt(0)
	buffer_gl1_inv
	buffer_gl0_inv
	v_cmpx_ne_u64_e64 v[26:27], v[24:25]
	s_cbranch_execz .LBB3_200
; %bb.197:                              ;   in Loop: Header=BB3_146 Depth=1
	s_mov_b32 s19, 0
	.p2align	6
.LBB3_198:                              ;   Parent Loop BB3_146 Depth=1
                                        ; =>  This Inner Loop Header: Depth=2
	s_sleep 1
	s_clause 0x1
	global_load_dwordx2 v[22:23], v3, s[26:27] offset:40
	global_load_dwordx2 v[28:29], v3, s[26:27]
	v_mov_b32_e32 v24, v26
	v_mov_b32_e32 v25, v27
	s_waitcnt vmcnt(1)
	v_and_b32_e32 v2, v22, v24
	v_and_b32_e32 v22, v23, v25
	s_waitcnt vmcnt(0)
	v_mad_u64_u32 v[26:27], null, v2, 24, v[28:29]
	v_mov_b32_e32 v2, v27
	v_mad_u64_u32 v[22:23], null, v22, 24, v[2:3]
	v_mov_b32_e32 v27, v22
	global_load_dwordx2 v[22:23], v[26:27], off glc dlc
	s_waitcnt vmcnt(0)
	global_atomic_cmpswap_x2 v[26:27], v3, v[22:25], s[26:27] offset:24 glc
	s_waitcnt vmcnt(0)
	buffer_gl1_inv
	buffer_gl0_inv
	v_cmp_eq_u64_e32 vcc_lo, v[26:27], v[24:25]
	s_or_b32 s19, vcc_lo, s19
	s_andn2_b32 exec_lo, exec_lo, s19
	s_cbranch_execnz .LBB3_198
; %bb.199:                              ;   in Loop: Header=BB3_146 Depth=1
	s_or_b32 exec_lo, exec_lo, s19
.LBB3_200:                              ;   in Loop: Header=BB3_146 Depth=1
	s_or_b32 exec_lo, exec_lo, s18
.LBB3_201:                              ;   in Loop: Header=BB3_146 Depth=1
	s_or_b32 exec_lo, exec_lo, s5
	s_clause 0x1
	global_load_dwordx2 v[28:29], v3, s[26:27] offset:40
	global_load_dwordx4 v[22:25], v3, s[26:27]
	v_readfirstlane_b32 s18, v26
	v_readfirstlane_b32 s19, v27
	s_mov_b32 s5, exec_lo
	s_waitcnt vmcnt(1)
	v_readfirstlane_b32 s20, v28
	v_readfirstlane_b32 s21, v29
	s_and_b64 s[20:21], s[18:19], s[20:21]
	s_mul_i32 s22, s21, 24
	s_mul_hi_u32 s23, s20, 24
	s_mul_i32 s24, s20, 24
	s_add_i32 s23, s23, s22
	s_waitcnt vmcnt(0)
	v_add_co_u32 v26, vcc_lo, v22, s24
	v_add_co_ci_u32_e32 v27, vcc_lo, s23, v23, vcc_lo
	s_and_saveexec_b32 s22, s4
	s_cbranch_execz .LBB3_203
; %bb.202:                              ;   in Loop: Header=BB3_146 Depth=1
	v_mov_b32_e32 v2, s5
	global_store_dwordx4 v[26:27], v[2:5], off offset:8
.LBB3_203:                              ;   in Loop: Header=BB3_146 Depth=1
	s_or_b32 exec_lo, exec_lo, s22
	s_lshl_b64 s[20:21], s[20:21], 12
	v_or_b32_e32 v2, 2, v6
	v_add_co_u32 v24, vcc_lo, v24, s20
	v_add_co_ci_u32_e32 v25, vcc_lo, s21, v25, vcc_lo
	v_cmp_gt_u64_e64 vcc_lo, s[10:11], 56
	s_lshl_b32 s5, s16, 2
	v_readfirstlane_b32 s20, v24
	s_add_i32 s5, s5, 28
	v_readfirstlane_b32 s21, v25
	s_and_b32 s5, s5, 0x1e0
	v_cndmask_b32_e32 v2, v2, v6, vcc_lo
	v_and_or_b32 v6, 0xffffff1f, v2, s5
	global_store_dwordx4 v39, v[10:13], s[20:21] offset:16
	global_store_dwordx4 v39, v[6:9], s[20:21]
	global_store_dwordx4 v39, v[14:17], s[20:21] offset:32
	global_store_dwordx4 v39, v[18:21], s[20:21] offset:48
	s_and_saveexec_b32 s5, s4
	s_cbranch_execz .LBB3_211
; %bb.204:                              ;   in Loop: Header=BB3_146 Depth=1
	s_clause 0x1
	global_load_dwordx2 v[14:15], v3, s[26:27] offset:32 glc dlc
	global_load_dwordx2 v[6:7], v3, s[26:27] offset:40
	v_mov_b32_e32 v12, s18
	v_mov_b32_e32 v13, s19
	s_waitcnt vmcnt(0)
	v_readfirstlane_b32 s20, v6
	v_readfirstlane_b32 s21, v7
	s_and_b64 s[20:21], s[20:21], s[18:19]
	s_mul_i32 s21, s21, 24
	s_mul_hi_u32 s22, s20, 24
	s_mul_i32 s20, s20, 24
	s_add_i32 s22, s22, s21
	v_add_co_u32 v10, vcc_lo, v22, s20
	v_add_co_ci_u32_e32 v11, vcc_lo, s22, v23, vcc_lo
	s_mov_b32 s20, exec_lo
	global_store_dwordx2 v[10:11], v[14:15], off
	s_waitcnt_vscnt null, 0x0
	global_atomic_cmpswap_x2 v[8:9], v3, v[12:15], s[26:27] offset:32 glc
	s_waitcnt vmcnt(0)
	v_cmpx_ne_u64_e64 v[8:9], v[14:15]
	s_cbranch_execz .LBB3_207
; %bb.205:                              ;   in Loop: Header=BB3_146 Depth=1
	s_mov_b32 s21, 0
.LBB3_206:                              ;   Parent Loop BB3_146 Depth=1
                                        ; =>  This Inner Loop Header: Depth=2
	v_mov_b32_e32 v6, s18
	v_mov_b32_e32 v7, s19
	s_sleep 1
	global_store_dwordx2 v[10:11], v[8:9], off
	s_waitcnt_vscnt null, 0x0
	global_atomic_cmpswap_x2 v[6:7], v3, v[6:9], s[26:27] offset:32 glc
	s_waitcnt vmcnt(0)
	v_cmp_eq_u64_e32 vcc_lo, v[6:7], v[8:9]
	v_mov_b32_e32 v9, v7
	v_mov_b32_e32 v8, v6
	s_or_b32 s21, vcc_lo, s21
	s_andn2_b32 exec_lo, exec_lo, s21
	s_cbranch_execnz .LBB3_206
.LBB3_207:                              ;   in Loop: Header=BB3_146 Depth=1
	s_or_b32 exec_lo, exec_lo, s20
	global_load_dwordx2 v[6:7], v3, s[26:27] offset:16
	s_mov_b32 s21, exec_lo
	s_mov_b32 s20, exec_lo
	v_mbcnt_lo_u32_b32 v2, s21, 0
	v_cmpx_eq_u32_e32 0, v2
	s_cbranch_execz .LBB3_209
; %bb.208:                              ;   in Loop: Header=BB3_146 Depth=1
	s_bcnt1_i32_b32 s21, s21
	v_mov_b32_e32 v2, s21
	s_waitcnt vmcnt(0)
	global_atomic_add_x2 v[6:7], v[2:3], off offset:8
.LBB3_209:                              ;   in Loop: Header=BB3_146 Depth=1
	s_or_b32 exec_lo, exec_lo, s20
	s_waitcnt vmcnt(0)
	global_load_dwordx2 v[8:9], v[6:7], off offset:16
	s_waitcnt vmcnt(0)
	v_cmp_eq_u64_e32 vcc_lo, 0, v[8:9]
	s_cbranch_vccnz .LBB3_211
; %bb.210:                              ;   in Loop: Header=BB3_146 Depth=1
	global_load_dword v2, v[6:7], off offset:24
	s_waitcnt vmcnt(0)
	v_and_b32_e32 v6, 0x7fffff, v2
	s_waitcnt_vscnt null, 0x0
	global_store_dwordx2 v[8:9], v[2:3], off
	v_readfirstlane_b32 m0, v6
	s_sendmsg sendmsg(MSG_INTERRUPT)
.LBB3_211:                              ;   in Loop: Header=BB3_146 Depth=1
	s_or_b32 exec_lo, exec_lo, s5
	v_add_co_u32 v6, vcc_lo, v24, v39
	v_add_co_ci_u32_e32 v7, vcc_lo, 0, v25, vcc_lo
	s_branch .LBB3_215
	.p2align	6
.LBB3_212:                              ;   in Loop: Header=BB3_215 Depth=2
	s_or_b32 exec_lo, exec_lo, s5
	v_readfirstlane_b32 s5, v2
	s_cmp_eq_u32 s5, 0
	s_cbranch_scc1 .LBB3_214
; %bb.213:                              ;   in Loop: Header=BB3_215 Depth=2
	s_sleep 1
	s_cbranch_execnz .LBB3_215
	s_branch .LBB3_217
	.p2align	6
.LBB3_214:                              ;   in Loop: Header=BB3_146 Depth=1
	s_branch .LBB3_217
.LBB3_215:                              ;   Parent Loop BB3_146 Depth=1
                                        ; =>  This Inner Loop Header: Depth=2
	v_mov_b32_e32 v2, 1
	s_and_saveexec_b32 s5, s4
	s_cbranch_execz .LBB3_212
; %bb.216:                              ;   in Loop: Header=BB3_215 Depth=2
	global_load_dword v2, v[26:27], off offset:20 glc dlc
	s_waitcnt vmcnt(0)
	buffer_gl1_inv
	buffer_gl0_inv
	v_and_b32_e32 v2, 1, v2
	s_branch .LBB3_212
.LBB3_217:                              ;   in Loop: Header=BB3_146 Depth=1
	global_load_dwordx4 v[6:9], v[6:7], off
	s_and_saveexec_b32 s5, s4
	s_cbranch_execz .LBB3_145
; %bb.218:                              ;   in Loop: Header=BB3_146 Depth=1
	s_clause 0x2
	global_load_dwordx2 v[10:11], v3, s[26:27] offset:40
	global_load_dwordx2 v[14:15], v3, s[26:27] offset:24 glc dlc
	global_load_dwordx2 v[12:13], v3, s[26:27]
	s_waitcnt vmcnt(2)
	v_add_co_u32 v2, vcc_lo, v10, 1
	v_add_co_ci_u32_e32 v16, vcc_lo, 0, v11, vcc_lo
	v_add_co_u32 v8, vcc_lo, v2, s18
	v_add_co_ci_u32_e32 v9, vcc_lo, s19, v16, vcc_lo
	v_cmp_eq_u64_e32 vcc_lo, 0, v[8:9]
	v_cndmask_b32_e32 v9, v9, v16, vcc_lo
	v_cndmask_b32_e32 v8, v8, v2, vcc_lo
	v_and_b32_e32 v2, v9, v11
	v_and_b32_e32 v10, v8, v10
	v_mul_lo_u32 v2, v2, 24
	v_mul_hi_u32 v11, v10, 24
	v_mul_lo_u32 v10, v10, 24
	v_add_nc_u32_e32 v2, v11, v2
	s_waitcnt vmcnt(0)
	v_add_co_u32 v12, vcc_lo, v12, v10
	v_mov_b32_e32 v10, v14
	v_mov_b32_e32 v11, v15
	v_add_co_ci_u32_e32 v13, vcc_lo, v13, v2, vcc_lo
	global_store_dwordx2 v[12:13], v[14:15], off
	s_waitcnt_vscnt null, 0x0
	global_atomic_cmpswap_x2 v[10:11], v3, v[8:11], s[26:27] offset:24 glc
	s_waitcnt vmcnt(0)
	v_cmp_ne_u64_e32 vcc_lo, v[10:11], v[14:15]
	s_and_b32 exec_lo, exec_lo, vcc_lo
	s_cbranch_execz .LBB3_145
; %bb.219:                              ;   in Loop: Header=BB3_146 Depth=1
	s_mov_b32 s4, 0
.LBB3_220:                              ;   Parent Loop BB3_146 Depth=1
                                        ; =>  This Inner Loop Header: Depth=2
	s_sleep 1
	global_store_dwordx2 v[12:13], v[10:11], off
	s_waitcnt_vscnt null, 0x0
	global_atomic_cmpswap_x2 v[14:15], v3, v[8:11], s[26:27] offset:24 glc
	s_waitcnt vmcnt(0)
	v_cmp_eq_u64_e32 vcc_lo, v[14:15], v[10:11]
	v_mov_b32_e32 v10, v14
	v_mov_b32_e32 v11, v15
	s_or_b32 s4, vcc_lo, s4
	s_andn2_b32 exec_lo, exec_lo, s4
	s_cbranch_execnz .LBB3_220
	s_branch .LBB3_145
.LBB3_221:
	s_branch .LBB3_250
.LBB3_222:
	s_cbranch_execz .LBB3_250
; %bb.223:
	v_readfirstlane_b32 s4, v50
	s_waitcnt vmcnt(0)
	v_mov_b32_e32 v8, 0
	v_mov_b32_e32 v9, 0
	v_cmp_eq_u32_e64 s4, s4, v50
	s_and_saveexec_b32 s5, s4
	s_cbranch_execz .LBB3_229
; %bb.224:
	v_mov_b32_e32 v2, 0
	s_mov_b32 s6, exec_lo
	global_load_dwordx2 v[5:6], v2, s[26:27] offset:24 glc dlc
	s_waitcnt vmcnt(0)
	buffer_gl1_inv
	buffer_gl0_inv
	s_clause 0x1
	global_load_dwordx2 v[3:4], v2, s[26:27] offset:40
	global_load_dwordx2 v[7:8], v2, s[26:27]
	s_waitcnt vmcnt(1)
	v_and_b32_e32 v4, v4, v6
	v_and_b32_e32 v3, v3, v5
	v_mul_lo_u32 v4, v4, 24
	v_mul_hi_u32 v9, v3, 24
	v_mul_lo_u32 v3, v3, 24
	v_add_nc_u32_e32 v4, v9, v4
	s_waitcnt vmcnt(0)
	v_add_co_u32 v3, vcc_lo, v7, v3
	v_add_co_ci_u32_e32 v4, vcc_lo, v8, v4, vcc_lo
	global_load_dwordx2 v[3:4], v[3:4], off glc dlc
	s_waitcnt vmcnt(0)
	global_atomic_cmpswap_x2 v[8:9], v2, v[3:6], s[26:27] offset:24 glc
	s_waitcnt vmcnt(0)
	buffer_gl1_inv
	buffer_gl0_inv
	v_cmpx_ne_u64_e64 v[8:9], v[5:6]
	s_cbranch_execz .LBB3_228
; %bb.225:
	s_mov_b32 s7, 0
	.p2align	6
.LBB3_226:                              ; =>This Inner Loop Header: Depth=1
	s_sleep 1
	s_clause 0x1
	global_load_dwordx2 v[3:4], v2, s[26:27] offset:40
	global_load_dwordx2 v[10:11], v2, s[26:27]
	v_mov_b32_e32 v5, v8
	v_mov_b32_e32 v6, v9
	s_waitcnt vmcnt(1)
	v_and_b32_e32 v3, v3, v5
	v_and_b32_e32 v4, v4, v6
	s_waitcnt vmcnt(0)
	v_mad_u64_u32 v[7:8], null, v3, 24, v[10:11]
	v_mov_b32_e32 v3, v8
	v_mad_u64_u32 v[3:4], null, v4, 24, v[3:4]
	v_mov_b32_e32 v8, v3
	global_load_dwordx2 v[3:4], v[7:8], off glc dlc
	s_waitcnt vmcnt(0)
	global_atomic_cmpswap_x2 v[8:9], v2, v[3:6], s[26:27] offset:24 glc
	s_waitcnt vmcnt(0)
	buffer_gl1_inv
	buffer_gl0_inv
	v_cmp_eq_u64_e32 vcc_lo, v[8:9], v[5:6]
	s_or_b32 s7, vcc_lo, s7
	s_andn2_b32 exec_lo, exec_lo, s7
	s_cbranch_execnz .LBB3_226
; %bb.227:
	s_or_b32 exec_lo, exec_lo, s7
.LBB3_228:
	s_or_b32 exec_lo, exec_lo, s6
.LBB3_229:
	s_or_b32 exec_lo, exec_lo, s5
	v_mov_b32_e32 v2, 0
	v_readfirstlane_b32 s6, v8
	v_readfirstlane_b32 s7, v9
	s_mov_b32 s5, exec_lo
	s_clause 0x1
	global_load_dwordx2 v[10:11], v2, s[26:27] offset:40
	global_load_dwordx4 v[4:7], v2, s[26:27]
	s_waitcnt vmcnt(1)
	v_readfirstlane_b32 s10, v10
	v_readfirstlane_b32 s11, v11
	s_and_b64 s[10:11], s[6:7], s[10:11]
	s_mul_i32 s16, s11, 24
	s_mul_hi_u32 s17, s10, 24
	s_mul_i32 s18, s10, 24
	s_add_i32 s17, s17, s16
	s_waitcnt vmcnt(0)
	v_add_co_u32 v8, vcc_lo, v4, s18
	v_add_co_ci_u32_e32 v9, vcc_lo, s17, v5, vcc_lo
	s_and_saveexec_b32 s16, s4
	s_cbranch_execz .LBB3_231
; %bb.230:
	v_mov_b32_e32 v10, s5
	v_mov_b32_e32 v11, v2
	;; [unrolled: 1-line block ×4, first 2 shown]
	global_store_dwordx4 v[8:9], v[10:13], off offset:8
.LBB3_231:
	s_or_b32 exec_lo, exec_lo, s16
	s_lshl_b64 s[10:11], s[10:11], 12
	s_mov_b32 s16, 0
	v_add_co_u32 v6, vcc_lo, v6, s10
	v_add_co_ci_u32_e32 v7, vcc_lo, s11, v7, vcc_lo
	s_mov_b32 s17, s16
	s_mov_b32 s18, s16
	;; [unrolled: 1-line block ×3, first 2 shown]
	v_and_or_b32 v0, 0xffffff1d, v0, 34
	v_mov_b32_e32 v3, v2
	v_readfirstlane_b32 s10, v6
	v_readfirstlane_b32 s11, v7
	v_mov_b32_e32 v10, s16
	v_mov_b32_e32 v11, s17
	;; [unrolled: 1-line block ×4, first 2 shown]
	global_store_dwordx4 v39, v[0:3], s[10:11]
	global_store_dwordx4 v39, v[10:13], s[10:11] offset:16
	global_store_dwordx4 v39, v[10:13], s[10:11] offset:32
	;; [unrolled: 1-line block ×3, first 2 shown]
	s_and_saveexec_b32 s5, s4
	s_cbranch_execz .LBB3_239
; %bb.232:
	v_mov_b32_e32 v6, 0
	v_mov_b32_e32 v10, s6
	;; [unrolled: 1-line block ×3, first 2 shown]
	s_clause 0x1
	global_load_dwordx2 v[12:13], v6, s[26:27] offset:32 glc dlc
	global_load_dwordx2 v[0:1], v6, s[26:27] offset:40
	s_waitcnt vmcnt(0)
	v_readfirstlane_b32 s10, v0
	v_readfirstlane_b32 s11, v1
	s_and_b64 s[10:11], s[10:11], s[6:7]
	s_mul_i32 s11, s11, 24
	s_mul_hi_u32 s16, s10, 24
	s_mul_i32 s10, s10, 24
	s_add_i32 s16, s16, s11
	v_add_co_u32 v4, vcc_lo, v4, s10
	v_add_co_ci_u32_e32 v5, vcc_lo, s16, v5, vcc_lo
	s_mov_b32 s10, exec_lo
	global_store_dwordx2 v[4:5], v[12:13], off
	s_waitcnt_vscnt null, 0x0
	global_atomic_cmpswap_x2 v[2:3], v6, v[10:13], s[26:27] offset:32 glc
	s_waitcnt vmcnt(0)
	v_cmpx_ne_u64_e64 v[2:3], v[12:13]
	s_cbranch_execz .LBB3_235
; %bb.233:
	s_mov_b32 s11, 0
.LBB3_234:                              ; =>This Inner Loop Header: Depth=1
	v_mov_b32_e32 v0, s6
	v_mov_b32_e32 v1, s7
	s_sleep 1
	global_store_dwordx2 v[4:5], v[2:3], off
	s_waitcnt_vscnt null, 0x0
	global_atomic_cmpswap_x2 v[0:1], v6, v[0:3], s[26:27] offset:32 glc
	s_waitcnt vmcnt(0)
	v_cmp_eq_u64_e32 vcc_lo, v[0:1], v[2:3]
	v_mov_b32_e32 v3, v1
	v_mov_b32_e32 v2, v0
	s_or_b32 s11, vcc_lo, s11
	s_andn2_b32 exec_lo, exec_lo, s11
	s_cbranch_execnz .LBB3_234
.LBB3_235:
	s_or_b32 exec_lo, exec_lo, s10
	v_mov_b32_e32 v3, 0
	s_mov_b32 s11, exec_lo
	s_mov_b32 s10, exec_lo
	v_mbcnt_lo_u32_b32 v2, s11, 0
	global_load_dwordx2 v[0:1], v3, s[26:27] offset:16
	v_cmpx_eq_u32_e32 0, v2
	s_cbranch_execz .LBB3_237
; %bb.236:
	s_bcnt1_i32_b32 s11, s11
	v_mov_b32_e32 v2, s11
	s_waitcnt vmcnt(0)
	global_atomic_add_x2 v[0:1], v[2:3], off offset:8
.LBB3_237:
	s_or_b32 exec_lo, exec_lo, s10
	s_waitcnt vmcnt(0)
	global_load_dwordx2 v[2:3], v[0:1], off offset:16
	s_waitcnt vmcnt(0)
	v_cmp_eq_u64_e32 vcc_lo, 0, v[2:3]
	s_cbranch_vccnz .LBB3_239
; %bb.238:
	global_load_dword v0, v[0:1], off offset:24
	v_mov_b32_e32 v1, 0
	s_waitcnt vmcnt(0)
	v_and_b32_e32 v4, 0x7fffff, v0
	s_waitcnt_vscnt null, 0x0
	global_store_dwordx2 v[2:3], v[0:1], off
	v_readfirstlane_b32 m0, v4
	s_sendmsg sendmsg(MSG_INTERRUPT)
.LBB3_239:
	s_or_b32 exec_lo, exec_lo, s5
	s_branch .LBB3_243
	.p2align	6
.LBB3_240:                              ;   in Loop: Header=BB3_243 Depth=1
	s_or_b32 exec_lo, exec_lo, s5
	v_readfirstlane_b32 s5, v0
	s_cmp_eq_u32 s5, 0
	s_cbranch_scc1 .LBB3_242
; %bb.241:                              ;   in Loop: Header=BB3_243 Depth=1
	s_sleep 1
	s_cbranch_execnz .LBB3_243
	s_branch .LBB3_245
	.p2align	6
.LBB3_242:
	s_branch .LBB3_245
.LBB3_243:                              ; =>This Inner Loop Header: Depth=1
	v_mov_b32_e32 v0, 1
	s_and_saveexec_b32 s5, s4
	s_cbranch_execz .LBB3_240
; %bb.244:                              ;   in Loop: Header=BB3_243 Depth=1
	global_load_dword v0, v[8:9], off offset:20 glc dlc
	s_waitcnt vmcnt(0)
	buffer_gl1_inv
	buffer_gl0_inv
	v_and_b32_e32 v0, 1, v0
	s_branch .LBB3_240
.LBB3_245:
	s_and_saveexec_b32 s5, s4
	s_cbranch_execz .LBB3_249
; %bb.246:
	v_mov_b32_e32 v6, 0
	s_clause 0x2
	global_load_dwordx2 v[2:3], v6, s[26:27] offset:40
	global_load_dwordx2 v[7:8], v6, s[26:27] offset:24 glc dlc
	global_load_dwordx2 v[4:5], v6, s[26:27]
	s_waitcnt vmcnt(2)
	v_add_co_u32 v9, vcc_lo, v2, 1
	v_add_co_ci_u32_e32 v10, vcc_lo, 0, v3, vcc_lo
	v_add_co_u32 v0, vcc_lo, v9, s6
	v_add_co_ci_u32_e32 v1, vcc_lo, s7, v10, vcc_lo
	v_cmp_eq_u64_e32 vcc_lo, 0, v[0:1]
	v_cndmask_b32_e32 v1, v1, v10, vcc_lo
	v_cndmask_b32_e32 v0, v0, v9, vcc_lo
	v_and_b32_e32 v3, v1, v3
	v_and_b32_e32 v2, v0, v2
	v_mul_lo_u32 v3, v3, 24
	v_mul_hi_u32 v9, v2, 24
	v_mul_lo_u32 v2, v2, 24
	v_add_nc_u32_e32 v3, v9, v3
	s_waitcnt vmcnt(0)
	v_add_co_u32 v4, vcc_lo, v4, v2
	v_mov_b32_e32 v2, v7
	v_add_co_ci_u32_e32 v5, vcc_lo, v5, v3, vcc_lo
	v_mov_b32_e32 v3, v8
	global_store_dwordx2 v[4:5], v[7:8], off
	s_waitcnt_vscnt null, 0x0
	global_atomic_cmpswap_x2 v[2:3], v6, v[0:3], s[26:27] offset:24 glc
	s_waitcnt vmcnt(0)
	v_cmp_ne_u64_e32 vcc_lo, v[2:3], v[7:8]
	s_and_b32 exec_lo, exec_lo, vcc_lo
	s_cbranch_execz .LBB3_249
; %bb.247:
	s_mov_b32 s4, 0
.LBB3_248:                              ; =>This Inner Loop Header: Depth=1
	s_sleep 1
	global_store_dwordx2 v[4:5], v[2:3], off
	s_waitcnt_vscnt null, 0x0
	global_atomic_cmpswap_x2 v[7:8], v6, v[0:3], s[26:27] offset:24 glc
	s_waitcnt vmcnt(0)
	v_cmp_eq_u64_e32 vcc_lo, v[7:8], v[2:3]
	v_mov_b32_e32 v2, v7
	v_mov_b32_e32 v3, v8
	s_or_b32 s4, vcc_lo, s4
	s_andn2_b32 exec_lo, exec_lo, s4
	s_cbranch_execnz .LBB3_248
.LBB3_249:
	s_or_b32 exec_lo, exec_lo, s5
.LBB3_250:
	v_readfirstlane_b32 s4, v50
	s_waitcnt vmcnt(0)
	v_mov_b32_e32 v6, 0
	v_mov_b32_e32 v7, 0
	v_cmp_eq_u32_e64 s4, s4, v50
	s_and_saveexec_b32 s5, s4
	s_cbranch_execz .LBB3_256
; %bb.251:
	v_mov_b32_e32 v0, 0
	s_mov_b32 s6, exec_lo
	global_load_dwordx2 v[3:4], v0, s[26:27] offset:24 glc dlc
	s_waitcnt vmcnt(0)
	buffer_gl1_inv
	buffer_gl0_inv
	s_clause 0x1
	global_load_dwordx2 v[1:2], v0, s[26:27] offset:40
	global_load_dwordx2 v[5:6], v0, s[26:27]
	s_waitcnt vmcnt(1)
	v_and_b32_e32 v2, v2, v4
	v_and_b32_e32 v1, v1, v3
	v_mul_lo_u32 v2, v2, 24
	v_mul_hi_u32 v7, v1, 24
	v_mul_lo_u32 v1, v1, 24
	v_add_nc_u32_e32 v2, v7, v2
	s_waitcnt vmcnt(0)
	v_add_co_u32 v1, vcc_lo, v5, v1
	v_add_co_ci_u32_e32 v2, vcc_lo, v6, v2, vcc_lo
	global_load_dwordx2 v[1:2], v[1:2], off glc dlc
	s_waitcnt vmcnt(0)
	global_atomic_cmpswap_x2 v[6:7], v0, v[1:4], s[26:27] offset:24 glc
	s_waitcnt vmcnt(0)
	buffer_gl1_inv
	buffer_gl0_inv
	v_cmpx_ne_u64_e64 v[6:7], v[3:4]
	s_cbranch_execz .LBB3_255
; %bb.252:
	s_mov_b32 s7, 0
	.p2align	6
.LBB3_253:                              ; =>This Inner Loop Header: Depth=1
	s_sleep 1
	s_clause 0x1
	global_load_dwordx2 v[1:2], v0, s[26:27] offset:40
	global_load_dwordx2 v[8:9], v0, s[26:27]
	v_mov_b32_e32 v3, v6
	v_mov_b32_e32 v4, v7
	s_waitcnt vmcnt(1)
	v_and_b32_e32 v1, v1, v3
	v_and_b32_e32 v2, v2, v4
	s_waitcnt vmcnt(0)
	v_mad_u64_u32 v[5:6], null, v1, 24, v[8:9]
	v_mov_b32_e32 v1, v6
	v_mad_u64_u32 v[1:2], null, v2, 24, v[1:2]
	v_mov_b32_e32 v6, v1
	global_load_dwordx2 v[1:2], v[5:6], off glc dlc
	s_waitcnt vmcnt(0)
	global_atomic_cmpswap_x2 v[6:7], v0, v[1:4], s[26:27] offset:24 glc
	s_waitcnt vmcnt(0)
	buffer_gl1_inv
	buffer_gl0_inv
	v_cmp_eq_u64_e32 vcc_lo, v[6:7], v[3:4]
	s_or_b32 s7, vcc_lo, s7
	s_andn2_b32 exec_lo, exec_lo, s7
	s_cbranch_execnz .LBB3_253
; %bb.254:
	s_or_b32 exec_lo, exec_lo, s7
.LBB3_255:
	s_or_b32 exec_lo, exec_lo, s6
.LBB3_256:
	s_or_b32 exec_lo, exec_lo, s5
	v_mov_b32_e32 v5, 0
	v_readfirstlane_b32 s6, v6
	v_readfirstlane_b32 s7, v7
	s_mov_b32 s5, exec_lo
	s_clause 0x1
	global_load_dwordx2 v[8:9], v5, s[26:27] offset:40
	global_load_dwordx4 v[0:3], v5, s[26:27]
	s_waitcnt vmcnt(1)
	v_readfirstlane_b32 s10, v8
	v_readfirstlane_b32 s11, v9
	s_and_b64 s[10:11], s[6:7], s[10:11]
	s_mul_i32 s16, s11, 24
	s_mul_hi_u32 s17, s10, 24
	s_mul_i32 s18, s10, 24
	s_add_i32 s17, s17, s16
	s_waitcnt vmcnt(0)
	v_add_co_u32 v8, vcc_lo, v0, s18
	v_add_co_ci_u32_e32 v9, vcc_lo, s17, v1, vcc_lo
	s_and_saveexec_b32 s16, s4
	s_cbranch_execz .LBB3_258
; %bb.257:
	v_mov_b32_e32 v4, s5
	v_mov_b32_e32 v6, 2
	;; [unrolled: 1-line block ×3, first 2 shown]
	global_store_dwordx4 v[8:9], v[4:7], off offset:8
.LBB3_258:
	s_or_b32 exec_lo, exec_lo, s16
	s_lshl_b64 s[10:11], s[10:11], 12
	s_mov_b32 s16, 0
	v_add_co_u32 v2, vcc_lo, v2, s10
	v_add_co_ci_u32_e32 v3, vcc_lo, s11, v3, vcc_lo
	s_mov_b32 s17, s16
	v_add_co_u32 v10, vcc_lo, v2, v39
	s_mov_b32 s18, s16
	s_mov_b32 s19, s16
	v_mov_b32_e32 v4, 33
	v_mov_b32_e32 v6, v5
	;; [unrolled: 1-line block ×3, first 2 shown]
	v_readfirstlane_b32 s10, v2
	v_readfirstlane_b32 s11, v3
	v_mov_b32_e32 v12, s16
	v_add_co_ci_u32_e32 v11, vcc_lo, 0, v3, vcc_lo
	v_mov_b32_e32 v13, s17
	v_mov_b32_e32 v14, s18
	;; [unrolled: 1-line block ×3, first 2 shown]
	global_store_dwordx4 v39, v[4:7], s[10:11]
	global_store_dwordx4 v39, v[12:15], s[10:11] offset:16
	global_store_dwordx4 v39, v[12:15], s[10:11] offset:32
	;; [unrolled: 1-line block ×3, first 2 shown]
	s_and_saveexec_b32 s5, s4
	s_cbranch_execz .LBB3_266
; %bb.259:
	v_mov_b32_e32 v6, 0
	v_mov_b32_e32 v12, s6
	v_mov_b32_e32 v13, s7
	s_clause 0x1
	global_load_dwordx2 v[14:15], v6, s[26:27] offset:32 glc dlc
	global_load_dwordx2 v[2:3], v6, s[26:27] offset:40
	s_waitcnt vmcnt(0)
	v_readfirstlane_b32 s10, v2
	v_readfirstlane_b32 s11, v3
	s_and_b64 s[10:11], s[10:11], s[6:7]
	s_mul_i32 s11, s11, 24
	s_mul_hi_u32 s16, s10, 24
	s_mul_i32 s10, s10, 24
	s_add_i32 s16, s16, s11
	v_add_co_u32 v4, vcc_lo, v0, s10
	v_add_co_ci_u32_e32 v5, vcc_lo, s16, v1, vcc_lo
	s_mov_b32 s10, exec_lo
	global_store_dwordx2 v[4:5], v[14:15], off
	s_waitcnt_vscnt null, 0x0
	global_atomic_cmpswap_x2 v[2:3], v6, v[12:15], s[26:27] offset:32 glc
	s_waitcnt vmcnt(0)
	v_cmpx_ne_u64_e64 v[2:3], v[14:15]
	s_cbranch_execz .LBB3_262
; %bb.260:
	s_mov_b32 s11, 0
.LBB3_261:                              ; =>This Inner Loop Header: Depth=1
	v_mov_b32_e32 v0, s6
	v_mov_b32_e32 v1, s7
	s_sleep 1
	global_store_dwordx2 v[4:5], v[2:3], off
	s_waitcnt_vscnt null, 0x0
	global_atomic_cmpswap_x2 v[0:1], v6, v[0:3], s[26:27] offset:32 glc
	s_waitcnt vmcnt(0)
	v_cmp_eq_u64_e32 vcc_lo, v[0:1], v[2:3]
	v_mov_b32_e32 v3, v1
	v_mov_b32_e32 v2, v0
	s_or_b32 s11, vcc_lo, s11
	s_andn2_b32 exec_lo, exec_lo, s11
	s_cbranch_execnz .LBB3_261
.LBB3_262:
	s_or_b32 exec_lo, exec_lo, s10
	v_mov_b32_e32 v3, 0
	s_mov_b32 s11, exec_lo
	s_mov_b32 s10, exec_lo
	v_mbcnt_lo_u32_b32 v2, s11, 0
	global_load_dwordx2 v[0:1], v3, s[26:27] offset:16
	v_cmpx_eq_u32_e32 0, v2
	s_cbranch_execz .LBB3_264
; %bb.263:
	s_bcnt1_i32_b32 s11, s11
	v_mov_b32_e32 v2, s11
	s_waitcnt vmcnt(0)
	global_atomic_add_x2 v[0:1], v[2:3], off offset:8
.LBB3_264:
	s_or_b32 exec_lo, exec_lo, s10
	s_waitcnt vmcnt(0)
	global_load_dwordx2 v[2:3], v[0:1], off offset:16
	s_waitcnt vmcnt(0)
	v_cmp_eq_u64_e32 vcc_lo, 0, v[2:3]
	s_cbranch_vccnz .LBB3_266
; %bb.265:
	global_load_dword v0, v[0:1], off offset:24
	v_mov_b32_e32 v1, 0
	s_waitcnt vmcnt(0)
	v_and_b32_e32 v4, 0x7fffff, v0
	s_waitcnt_vscnt null, 0x0
	global_store_dwordx2 v[2:3], v[0:1], off
	v_readfirstlane_b32 m0, v4
	s_sendmsg sendmsg(MSG_INTERRUPT)
.LBB3_266:
	s_or_b32 exec_lo, exec_lo, s5
	s_branch .LBB3_270
	.p2align	6
.LBB3_267:                              ;   in Loop: Header=BB3_270 Depth=1
	s_or_b32 exec_lo, exec_lo, s5
	v_readfirstlane_b32 s5, v0
	s_cmp_eq_u32 s5, 0
	s_cbranch_scc1 .LBB3_269
; %bb.268:                              ;   in Loop: Header=BB3_270 Depth=1
	s_sleep 1
	s_cbranch_execnz .LBB3_270
	s_branch .LBB3_272
	.p2align	6
.LBB3_269:
	s_branch .LBB3_272
.LBB3_270:                              ; =>This Inner Loop Header: Depth=1
	v_mov_b32_e32 v0, 1
	s_and_saveexec_b32 s5, s4
	s_cbranch_execz .LBB3_267
; %bb.271:                              ;   in Loop: Header=BB3_270 Depth=1
	global_load_dword v0, v[8:9], off offset:20 glc dlc
	s_waitcnt vmcnt(0)
	buffer_gl1_inv
	buffer_gl0_inv
	v_and_b32_e32 v0, 1, v0
	s_branch .LBB3_267
.LBB3_272:
	global_load_dwordx2 v[0:1], v[10:11], off
	s_and_saveexec_b32 s5, s4
	s_cbranch_execz .LBB3_276
; %bb.273:
	v_mov_b32_e32 v8, 0
	s_clause 0x2
	global_load_dwordx2 v[4:5], v8, s[26:27] offset:40
	global_load_dwordx2 v[9:10], v8, s[26:27] offset:24 glc dlc
	global_load_dwordx2 v[6:7], v8, s[26:27]
	s_waitcnt vmcnt(2)
	v_add_co_u32 v11, vcc_lo, v4, 1
	v_add_co_ci_u32_e32 v12, vcc_lo, 0, v5, vcc_lo
	v_add_co_u32 v2, vcc_lo, v11, s6
	v_add_co_ci_u32_e32 v3, vcc_lo, s7, v12, vcc_lo
	v_cmp_eq_u64_e32 vcc_lo, 0, v[2:3]
	v_cndmask_b32_e32 v3, v3, v12, vcc_lo
	v_cndmask_b32_e32 v2, v2, v11, vcc_lo
	v_and_b32_e32 v5, v3, v5
	v_and_b32_e32 v4, v2, v4
	v_mul_lo_u32 v5, v5, 24
	v_mul_hi_u32 v11, v4, 24
	v_mul_lo_u32 v4, v4, 24
	v_add_nc_u32_e32 v5, v11, v5
	s_waitcnt vmcnt(0)
	v_add_co_u32 v6, vcc_lo, v6, v4
	v_mov_b32_e32 v4, v9
	v_add_co_ci_u32_e32 v7, vcc_lo, v7, v5, vcc_lo
	v_mov_b32_e32 v5, v10
	global_store_dwordx2 v[6:7], v[9:10], off
	s_waitcnt_vscnt null, 0x0
	global_atomic_cmpswap_x2 v[4:5], v8, v[2:5], s[26:27] offset:24 glc
	s_waitcnt vmcnt(0)
	v_cmp_ne_u64_e32 vcc_lo, v[4:5], v[9:10]
	s_and_b32 exec_lo, exec_lo, vcc_lo
	s_cbranch_execz .LBB3_276
; %bb.274:
	s_mov_b32 s4, 0
.LBB3_275:                              ; =>This Inner Loop Header: Depth=1
	s_sleep 1
	global_store_dwordx2 v[6:7], v[4:5], off
	s_waitcnt_vscnt null, 0x0
	global_atomic_cmpswap_x2 v[9:10], v8, v[2:5], s[26:27] offset:24 glc
	s_waitcnt vmcnt(0)
	v_cmp_eq_u64_e32 vcc_lo, v[9:10], v[4:5]
	v_mov_b32_e32 v4, v9
	v_mov_b32_e32 v5, v10
	s_or_b32 s4, vcc_lo, s4
	s_andn2_b32 exec_lo, exec_lo, s4
	s_cbranch_execnz .LBB3_275
.LBB3_276:
	s_or_b32 exec_lo, exec_lo, s5
	s_getpc_b64 s[6:7]
	s_add_u32 s6, s6, .str.6@rel32@lo+4
	s_addc_u32 s7, s7, .str.6@rel32@hi+12
	s_cmp_lg_u64 s[6:7], 0
	s_cselect_b32 s35, -1, 0
	s_and_b32 vcc_lo, exec_lo, s35
	s_cbranch_vccz .LBB3_355
; %bb.277:
	s_waitcnt vmcnt(0)
	v_and_b32_e32 v31, 2, v0
	v_mov_b32_e32 v6, 0
	v_and_b32_e32 v2, -3, v0
	v_mov_b32_e32 v3, v1
	v_mov_b32_e32 v7, 2
	v_mov_b32_e32 v8, 1
	s_mov_b64 s[10:11], 3
	s_branch .LBB3_279
.LBB3_278:                              ;   in Loop: Header=BB3_279 Depth=1
	s_or_b32 exec_lo, exec_lo, s5
	s_sub_u32 s10, s10, s16
	s_subb_u32 s11, s11, s17
	s_add_u32 s6, s6, s16
	s_addc_u32 s7, s7, s17
	s_cmp_lg_u64 s[10:11], 0
	s_cbranch_scc0 .LBB3_354
.LBB3_279:                              ; =>This Loop Header: Depth=1
                                        ;     Child Loop BB3_288 Depth 2
                                        ;     Child Loop BB3_284 Depth 2
	;; [unrolled: 1-line block ×11, first 2 shown]
	v_cmp_lt_u64_e64 s4, s[10:11], 56
	v_cmp_gt_u64_e64 s5, s[10:11], 7
                                        ; implicit-def: $vgpr11_vgpr12
                                        ; implicit-def: $sgpr22
	s_and_b32 s4, s4, exec_lo
	s_cselect_b32 s17, s11, 0
	s_cselect_b32 s16, s10, 56
	s_and_b32 vcc_lo, exec_lo, s5
	s_mov_b32 s4, -1
	s_cbranch_vccz .LBB3_286
; %bb.280:                              ;   in Loop: Header=BB3_279 Depth=1
	s_andn2_b32 vcc_lo, exec_lo, s4
	s_mov_b64 s[4:5], s[6:7]
	s_cbranch_vccz .LBB3_290
.LBB3_281:                              ;   in Loop: Header=BB3_279 Depth=1
	s_cmp_gt_u32 s22, 7
	s_cbranch_scc1 .LBB3_291
.LBB3_282:                              ;   in Loop: Header=BB3_279 Depth=1
	v_mov_b32_e32 v13, 0
	v_mov_b32_e32 v14, 0
	s_cmp_eq_u32 s22, 0
	s_cbranch_scc1 .LBB3_285
; %bb.283:                              ;   in Loop: Header=BB3_279 Depth=1
	s_mov_b64 s[18:19], 0
	s_mov_b64 s[20:21], 0
.LBB3_284:                              ;   Parent Loop BB3_279 Depth=1
                                        ; =>  This Inner Loop Header: Depth=2
	s_add_u32 s24, s4, s20
	s_addc_u32 s25, s5, s21
	s_add_u32 s20, s20, 1
	global_load_ubyte v4, v6, s[24:25]
	s_addc_u32 s21, s21, 0
	s_waitcnt vmcnt(0)
	v_and_b32_e32 v5, 0xffff, v4
	v_lshlrev_b64 v[4:5], s18, v[5:6]
	s_add_u32 s18, s18, 8
	s_addc_u32 s19, s19, 0
	s_cmp_lg_u32 s22, s20
	v_or_b32_e32 v13, v4, v13
	v_or_b32_e32 v14, v5, v14
	s_cbranch_scc1 .LBB3_284
.LBB3_285:                              ;   in Loop: Header=BB3_279 Depth=1
	s_mov_b32 s23, 0
	s_cbranch_execz .LBB3_292
	s_branch .LBB3_293
.LBB3_286:                              ;   in Loop: Header=BB3_279 Depth=1
	v_mov_b32_e32 v11, 0
	v_mov_b32_e32 v12, 0
	s_cmp_eq_u64 s[10:11], 0
	s_mov_b64 s[4:5], 0
	s_cbranch_scc1 .LBB3_289
; %bb.287:                              ;   in Loop: Header=BB3_279 Depth=1
	v_mov_b32_e32 v11, 0
	v_mov_b32_e32 v12, 0
	s_lshl_b64 s[18:19], s[16:17], 3
	s_mov_b64 s[20:21], s[6:7]
.LBB3_288:                              ;   Parent Loop BB3_279 Depth=1
                                        ; =>  This Inner Loop Header: Depth=2
	global_load_ubyte v4, v6, s[20:21]
	s_waitcnt vmcnt(0)
	v_and_b32_e32 v5, 0xffff, v4
	v_lshlrev_b64 v[4:5], s4, v[5:6]
	s_add_u32 s4, s4, 8
	s_addc_u32 s5, s5, 0
	s_add_u32 s20, s20, 1
	s_addc_u32 s21, s21, 0
	s_cmp_lg_u32 s18, s4
	v_or_b32_e32 v11, v4, v11
	v_or_b32_e32 v12, v5, v12
	s_cbranch_scc1 .LBB3_288
.LBB3_289:                              ;   in Loop: Header=BB3_279 Depth=1
	s_mov_b32 s22, 0
	s_mov_b64 s[4:5], s[6:7]
	s_cbranch_execnz .LBB3_281
.LBB3_290:                              ;   in Loop: Header=BB3_279 Depth=1
	global_load_dwordx2 v[11:12], v6, s[6:7]
	s_add_i32 s22, s16, -8
	s_add_u32 s4, s6, 8
	s_addc_u32 s5, s7, 0
	s_cmp_gt_u32 s22, 7
	s_cbranch_scc0 .LBB3_282
.LBB3_291:                              ;   in Loop: Header=BB3_279 Depth=1
                                        ; implicit-def: $vgpr13_vgpr14
                                        ; implicit-def: $sgpr23
.LBB3_292:                              ;   in Loop: Header=BB3_279 Depth=1
	global_load_dwordx2 v[13:14], v6, s[4:5]
	s_add_i32 s23, s22, -8
	s_add_u32 s4, s4, 8
	s_addc_u32 s5, s5, 0
.LBB3_293:                              ;   in Loop: Header=BB3_279 Depth=1
	s_cmp_gt_u32 s23, 7
	s_cbranch_scc1 .LBB3_298
; %bb.294:                              ;   in Loop: Header=BB3_279 Depth=1
	v_mov_b32_e32 v15, 0
	v_mov_b32_e32 v16, 0
	s_cmp_eq_u32 s23, 0
	s_cbranch_scc1 .LBB3_297
; %bb.295:                              ;   in Loop: Header=BB3_279 Depth=1
	s_mov_b64 s[18:19], 0
	s_mov_b64 s[20:21], 0
.LBB3_296:                              ;   Parent Loop BB3_279 Depth=1
                                        ; =>  This Inner Loop Header: Depth=2
	s_add_u32 s24, s4, s20
	s_addc_u32 s25, s5, s21
	s_add_u32 s20, s20, 1
	global_load_ubyte v4, v6, s[24:25]
	s_addc_u32 s21, s21, 0
	s_waitcnt vmcnt(0)
	v_and_b32_e32 v5, 0xffff, v4
	v_lshlrev_b64 v[4:5], s18, v[5:6]
	s_add_u32 s18, s18, 8
	s_addc_u32 s19, s19, 0
	s_cmp_lg_u32 s23, s20
	v_or_b32_e32 v15, v4, v15
	v_or_b32_e32 v16, v5, v16
	s_cbranch_scc1 .LBB3_296
.LBB3_297:                              ;   in Loop: Header=BB3_279 Depth=1
	s_mov_b32 s22, 0
	s_cbranch_execz .LBB3_299
	s_branch .LBB3_300
.LBB3_298:                              ;   in Loop: Header=BB3_279 Depth=1
                                        ; implicit-def: $sgpr22
.LBB3_299:                              ;   in Loop: Header=BB3_279 Depth=1
	global_load_dwordx2 v[15:16], v6, s[4:5]
	s_add_i32 s22, s23, -8
	s_add_u32 s4, s4, 8
	s_addc_u32 s5, s5, 0
.LBB3_300:                              ;   in Loop: Header=BB3_279 Depth=1
	s_cmp_gt_u32 s22, 7
	s_cbranch_scc1 .LBB3_305
; %bb.301:                              ;   in Loop: Header=BB3_279 Depth=1
	v_mov_b32_e32 v17, 0
	v_mov_b32_e32 v18, 0
	s_cmp_eq_u32 s22, 0
	s_cbranch_scc1 .LBB3_304
; %bb.302:                              ;   in Loop: Header=BB3_279 Depth=1
	s_mov_b64 s[18:19], 0
	s_mov_b64 s[20:21], 0
.LBB3_303:                              ;   Parent Loop BB3_279 Depth=1
                                        ; =>  This Inner Loop Header: Depth=2
	s_add_u32 s24, s4, s20
	s_addc_u32 s25, s5, s21
	s_add_u32 s20, s20, 1
	global_load_ubyte v4, v6, s[24:25]
	s_addc_u32 s21, s21, 0
	s_waitcnt vmcnt(0)
	v_and_b32_e32 v5, 0xffff, v4
	v_lshlrev_b64 v[4:5], s18, v[5:6]
	s_add_u32 s18, s18, 8
	s_addc_u32 s19, s19, 0
	s_cmp_lg_u32 s22, s20
	v_or_b32_e32 v17, v4, v17
	v_or_b32_e32 v18, v5, v18
	s_cbranch_scc1 .LBB3_303
.LBB3_304:                              ;   in Loop: Header=BB3_279 Depth=1
	s_mov_b32 s23, 0
	s_cbranch_execz .LBB3_306
	s_branch .LBB3_307
.LBB3_305:                              ;   in Loop: Header=BB3_279 Depth=1
                                        ; implicit-def: $vgpr17_vgpr18
                                        ; implicit-def: $sgpr23
.LBB3_306:                              ;   in Loop: Header=BB3_279 Depth=1
	global_load_dwordx2 v[17:18], v6, s[4:5]
	s_add_i32 s23, s22, -8
	s_add_u32 s4, s4, 8
	s_addc_u32 s5, s5, 0
.LBB3_307:                              ;   in Loop: Header=BB3_279 Depth=1
	s_cmp_gt_u32 s23, 7
	s_cbranch_scc1 .LBB3_312
; %bb.308:                              ;   in Loop: Header=BB3_279 Depth=1
	v_mov_b32_e32 v19, 0
	v_mov_b32_e32 v20, 0
	s_cmp_eq_u32 s23, 0
	s_cbranch_scc1 .LBB3_311
; %bb.309:                              ;   in Loop: Header=BB3_279 Depth=1
	s_mov_b64 s[18:19], 0
	s_mov_b64 s[20:21], 0
.LBB3_310:                              ;   Parent Loop BB3_279 Depth=1
                                        ; =>  This Inner Loop Header: Depth=2
	s_add_u32 s24, s4, s20
	s_addc_u32 s25, s5, s21
	s_add_u32 s20, s20, 1
	global_load_ubyte v4, v6, s[24:25]
	s_addc_u32 s21, s21, 0
	s_waitcnt vmcnt(0)
	v_and_b32_e32 v5, 0xffff, v4
	v_lshlrev_b64 v[4:5], s18, v[5:6]
	s_add_u32 s18, s18, 8
	s_addc_u32 s19, s19, 0
	s_cmp_lg_u32 s23, s20
	v_or_b32_e32 v19, v4, v19
	v_or_b32_e32 v20, v5, v20
	s_cbranch_scc1 .LBB3_310
.LBB3_311:                              ;   in Loop: Header=BB3_279 Depth=1
	s_mov_b32 s22, 0
	s_cbranch_execz .LBB3_313
	s_branch .LBB3_314
.LBB3_312:                              ;   in Loop: Header=BB3_279 Depth=1
                                        ; implicit-def: $sgpr22
.LBB3_313:                              ;   in Loop: Header=BB3_279 Depth=1
	global_load_dwordx2 v[19:20], v6, s[4:5]
	s_add_i32 s22, s23, -8
	s_add_u32 s4, s4, 8
	s_addc_u32 s5, s5, 0
.LBB3_314:                              ;   in Loop: Header=BB3_279 Depth=1
	s_cmp_gt_u32 s22, 7
	s_cbranch_scc1 .LBB3_319
; %bb.315:                              ;   in Loop: Header=BB3_279 Depth=1
	v_mov_b32_e32 v21, 0
	v_mov_b32_e32 v22, 0
	s_cmp_eq_u32 s22, 0
	s_cbranch_scc1 .LBB3_318
; %bb.316:                              ;   in Loop: Header=BB3_279 Depth=1
	s_mov_b64 s[18:19], 0
	s_mov_b64 s[20:21], 0
.LBB3_317:                              ;   Parent Loop BB3_279 Depth=1
                                        ; =>  This Inner Loop Header: Depth=2
	s_add_u32 s24, s4, s20
	s_addc_u32 s25, s5, s21
	s_add_u32 s20, s20, 1
	global_load_ubyte v4, v6, s[24:25]
	s_addc_u32 s21, s21, 0
	s_waitcnt vmcnt(0)
	v_and_b32_e32 v5, 0xffff, v4
	v_lshlrev_b64 v[4:5], s18, v[5:6]
	s_add_u32 s18, s18, 8
	s_addc_u32 s19, s19, 0
	s_cmp_lg_u32 s22, s20
	v_or_b32_e32 v21, v4, v21
	v_or_b32_e32 v22, v5, v22
	s_cbranch_scc1 .LBB3_317
.LBB3_318:                              ;   in Loop: Header=BB3_279 Depth=1
	s_mov_b32 s23, 0
	s_cbranch_execz .LBB3_320
	s_branch .LBB3_321
.LBB3_319:                              ;   in Loop: Header=BB3_279 Depth=1
                                        ; implicit-def: $vgpr21_vgpr22
                                        ; implicit-def: $sgpr23
.LBB3_320:                              ;   in Loop: Header=BB3_279 Depth=1
	global_load_dwordx2 v[21:22], v6, s[4:5]
	s_add_i32 s23, s22, -8
	s_add_u32 s4, s4, 8
	s_addc_u32 s5, s5, 0
.LBB3_321:                              ;   in Loop: Header=BB3_279 Depth=1
	s_cmp_gt_u32 s23, 7
	s_cbranch_scc1 .LBB3_326
; %bb.322:                              ;   in Loop: Header=BB3_279 Depth=1
	v_mov_b32_e32 v23, 0
	v_mov_b32_e32 v24, 0
	s_cmp_eq_u32 s23, 0
	s_cbranch_scc1 .LBB3_325
; %bb.323:                              ;   in Loop: Header=BB3_279 Depth=1
	s_mov_b64 s[18:19], 0
	s_mov_b64 s[20:21], s[4:5]
.LBB3_324:                              ;   Parent Loop BB3_279 Depth=1
                                        ; =>  This Inner Loop Header: Depth=2
	global_load_ubyte v4, v6, s[20:21]
	s_add_i32 s23, s23, -1
	s_waitcnt vmcnt(0)
	v_and_b32_e32 v5, 0xffff, v4
	v_lshlrev_b64 v[4:5], s18, v[5:6]
	s_add_u32 s18, s18, 8
	s_addc_u32 s19, s19, 0
	s_add_u32 s20, s20, 1
	s_addc_u32 s21, s21, 0
	s_cmp_lg_u32 s23, 0
	v_or_b32_e32 v23, v4, v23
	v_or_b32_e32 v24, v5, v24
	s_cbranch_scc1 .LBB3_324
.LBB3_325:                              ;   in Loop: Header=BB3_279 Depth=1
	s_cbranch_execz .LBB3_327
	s_branch .LBB3_328
.LBB3_326:                              ;   in Loop: Header=BB3_279 Depth=1
.LBB3_327:                              ;   in Loop: Header=BB3_279 Depth=1
	global_load_dwordx2 v[23:24], v6, s[4:5]
.LBB3_328:                              ;   in Loop: Header=BB3_279 Depth=1
	v_readfirstlane_b32 s4, v50
	s_waitcnt vmcnt(0)
	v_mov_b32_e32 v4, 0
	v_mov_b32_e32 v5, 0
	v_cmp_eq_u32_e64 s4, s4, v50
	s_and_saveexec_b32 s5, s4
	s_cbranch_execz .LBB3_334
; %bb.329:                              ;   in Loop: Header=BB3_279 Depth=1
	global_load_dwordx2 v[27:28], v6, s[26:27] offset:24 glc dlc
	s_waitcnt vmcnt(0)
	buffer_gl1_inv
	buffer_gl0_inv
	s_clause 0x1
	global_load_dwordx2 v[4:5], v6, s[26:27] offset:40
	global_load_dwordx2 v[9:10], v6, s[26:27]
	s_mov_b32 s18, exec_lo
	s_waitcnt vmcnt(1)
	v_and_b32_e32 v5, v5, v28
	v_and_b32_e32 v4, v4, v27
	v_mul_lo_u32 v5, v5, 24
	v_mul_hi_u32 v25, v4, 24
	v_mul_lo_u32 v4, v4, 24
	v_add_nc_u32_e32 v5, v25, v5
	s_waitcnt vmcnt(0)
	v_add_co_u32 v4, vcc_lo, v9, v4
	v_add_co_ci_u32_e32 v5, vcc_lo, v10, v5, vcc_lo
	global_load_dwordx2 v[25:26], v[4:5], off glc dlc
	s_waitcnt vmcnt(0)
	global_atomic_cmpswap_x2 v[4:5], v6, v[25:28], s[26:27] offset:24 glc
	s_waitcnt vmcnt(0)
	buffer_gl1_inv
	buffer_gl0_inv
	v_cmpx_ne_u64_e64 v[4:5], v[27:28]
	s_cbranch_execz .LBB3_333
; %bb.330:                              ;   in Loop: Header=BB3_279 Depth=1
	s_mov_b32 s19, 0
	.p2align	6
.LBB3_331:                              ;   Parent Loop BB3_279 Depth=1
                                        ; =>  This Inner Loop Header: Depth=2
	s_sleep 1
	s_clause 0x1
	global_load_dwordx2 v[9:10], v6, s[26:27] offset:40
	global_load_dwordx2 v[25:26], v6, s[26:27]
	v_mov_b32_e32 v28, v5
	v_mov_b32_e32 v27, v4
	s_waitcnt vmcnt(1)
	v_and_b32_e32 v4, v9, v27
	v_and_b32_e32 v9, v10, v28
	s_waitcnt vmcnt(0)
	v_mad_u64_u32 v[4:5], null, v4, 24, v[25:26]
	v_mad_u64_u32 v[9:10], null, v9, 24, v[5:6]
	v_mov_b32_e32 v5, v9
	global_load_dwordx2 v[25:26], v[4:5], off glc dlc
	s_waitcnt vmcnt(0)
	global_atomic_cmpswap_x2 v[4:5], v6, v[25:28], s[26:27] offset:24 glc
	s_waitcnt vmcnt(0)
	buffer_gl1_inv
	buffer_gl0_inv
	v_cmp_eq_u64_e32 vcc_lo, v[4:5], v[27:28]
	s_or_b32 s19, vcc_lo, s19
	s_andn2_b32 exec_lo, exec_lo, s19
	s_cbranch_execnz .LBB3_331
; %bb.332:                              ;   in Loop: Header=BB3_279 Depth=1
	s_or_b32 exec_lo, exec_lo, s19
.LBB3_333:                              ;   in Loop: Header=BB3_279 Depth=1
	s_or_b32 exec_lo, exec_lo, s18
.LBB3_334:                              ;   in Loop: Header=BB3_279 Depth=1
	s_or_b32 exec_lo, exec_lo, s5
	s_clause 0x1
	global_load_dwordx2 v[9:10], v6, s[26:27] offset:40
	global_load_dwordx4 v[25:28], v6, s[26:27]
	v_readfirstlane_b32 s18, v4
	v_readfirstlane_b32 s19, v5
	s_mov_b32 s5, exec_lo
	s_waitcnt vmcnt(1)
	v_readfirstlane_b32 s20, v9
	v_readfirstlane_b32 s21, v10
	s_and_b64 s[20:21], s[18:19], s[20:21]
	s_mul_i32 s22, s21, 24
	s_mul_hi_u32 s23, s20, 24
	s_mul_i32 s24, s20, 24
	s_add_i32 s23, s23, s22
	s_waitcnt vmcnt(0)
	v_add_co_u32 v29, vcc_lo, v25, s24
	v_add_co_ci_u32_e32 v30, vcc_lo, s23, v26, vcc_lo
	s_and_saveexec_b32 s22, s4
	s_cbranch_execz .LBB3_336
; %bb.335:                              ;   in Loop: Header=BB3_279 Depth=1
	v_mov_b32_e32 v5, s5
	global_store_dwordx4 v[29:30], v[5:8], off offset:8
.LBB3_336:                              ;   in Loop: Header=BB3_279 Depth=1
	s_or_b32 exec_lo, exec_lo, s22
	s_lshl_b64 s[20:21], s[20:21], 12
	v_cmp_gt_u64_e64 vcc_lo, s[10:11], 56
	v_or_b32_e32 v5, v2, v31
	v_add_co_u32 v27, s5, v27, s20
	v_add_co_ci_u32_e64 v28, s5, s21, v28, s5
	s_lshl_b32 s5, s16, 2
	v_or_b32_e32 v4, 0, v3
	v_cndmask_b32_e32 v2, v5, v2, vcc_lo
	s_add_i32 s5, s5, 28
	v_readfirstlane_b32 s20, v27
	s_and_b32 s5, s5, 0x1e0
	v_cndmask_b32_e32 v10, v4, v3, vcc_lo
	v_readfirstlane_b32 s21, v28
	v_and_or_b32 v9, 0xffffff1f, v2, s5
	global_store_dwordx4 v39, v[9:12], s[20:21]
	global_store_dwordx4 v39, v[13:16], s[20:21] offset:16
	global_store_dwordx4 v39, v[17:20], s[20:21] offset:32
	;; [unrolled: 1-line block ×3, first 2 shown]
	s_and_saveexec_b32 s5, s4
	s_cbranch_execz .LBB3_344
; %bb.337:                              ;   in Loop: Header=BB3_279 Depth=1
	s_clause 0x1
	global_load_dwordx2 v[13:14], v6, s[26:27] offset:32 glc dlc
	global_load_dwordx2 v[2:3], v6, s[26:27] offset:40
	v_mov_b32_e32 v11, s18
	v_mov_b32_e32 v12, s19
	s_waitcnt vmcnt(0)
	v_readfirstlane_b32 s20, v2
	v_readfirstlane_b32 s21, v3
	s_and_b64 s[20:21], s[20:21], s[18:19]
	s_mul_i32 s21, s21, 24
	s_mul_hi_u32 s22, s20, 24
	s_mul_i32 s20, s20, 24
	s_add_i32 s22, s22, s21
	v_add_co_u32 v9, vcc_lo, v25, s20
	v_add_co_ci_u32_e32 v10, vcc_lo, s22, v26, vcc_lo
	s_mov_b32 s20, exec_lo
	global_store_dwordx2 v[9:10], v[13:14], off
	s_waitcnt_vscnt null, 0x0
	global_atomic_cmpswap_x2 v[4:5], v6, v[11:14], s[26:27] offset:32 glc
	s_waitcnt vmcnt(0)
	v_cmpx_ne_u64_e64 v[4:5], v[13:14]
	s_cbranch_execz .LBB3_340
; %bb.338:                              ;   in Loop: Header=BB3_279 Depth=1
	s_mov_b32 s21, 0
.LBB3_339:                              ;   Parent Loop BB3_279 Depth=1
                                        ; =>  This Inner Loop Header: Depth=2
	v_mov_b32_e32 v2, s18
	v_mov_b32_e32 v3, s19
	s_sleep 1
	global_store_dwordx2 v[9:10], v[4:5], off
	s_waitcnt_vscnt null, 0x0
	global_atomic_cmpswap_x2 v[2:3], v6, v[2:5], s[26:27] offset:32 glc
	s_waitcnt vmcnt(0)
	v_cmp_eq_u64_e32 vcc_lo, v[2:3], v[4:5]
	v_mov_b32_e32 v5, v3
	v_mov_b32_e32 v4, v2
	s_or_b32 s21, vcc_lo, s21
	s_andn2_b32 exec_lo, exec_lo, s21
	s_cbranch_execnz .LBB3_339
.LBB3_340:                              ;   in Loop: Header=BB3_279 Depth=1
	s_or_b32 exec_lo, exec_lo, s20
	global_load_dwordx2 v[2:3], v6, s[26:27] offset:16
	s_mov_b32 s21, exec_lo
	s_mov_b32 s20, exec_lo
	v_mbcnt_lo_u32_b32 v4, s21, 0
	v_cmpx_eq_u32_e32 0, v4
	s_cbranch_execz .LBB3_342
; %bb.341:                              ;   in Loop: Header=BB3_279 Depth=1
	s_bcnt1_i32_b32 s21, s21
	v_mov_b32_e32 v5, s21
	s_waitcnt vmcnt(0)
	global_atomic_add_x2 v[2:3], v[5:6], off offset:8
.LBB3_342:                              ;   in Loop: Header=BB3_279 Depth=1
	s_or_b32 exec_lo, exec_lo, s20
	s_waitcnt vmcnt(0)
	global_load_dwordx2 v[9:10], v[2:3], off offset:16
	s_waitcnt vmcnt(0)
	v_cmp_eq_u64_e32 vcc_lo, 0, v[9:10]
	s_cbranch_vccnz .LBB3_344
; %bb.343:                              ;   in Loop: Header=BB3_279 Depth=1
	global_load_dword v5, v[2:3], off offset:24
	s_waitcnt vmcnt(0)
	v_and_b32_e32 v2, 0x7fffff, v5
	s_waitcnt_vscnt null, 0x0
	global_store_dwordx2 v[9:10], v[5:6], off
	v_readfirstlane_b32 m0, v2
	s_sendmsg sendmsg(MSG_INTERRUPT)
.LBB3_344:                              ;   in Loop: Header=BB3_279 Depth=1
	s_or_b32 exec_lo, exec_lo, s5
	v_add_co_u32 v2, vcc_lo, v27, v39
	v_add_co_ci_u32_e32 v3, vcc_lo, 0, v28, vcc_lo
	s_branch .LBB3_348
	.p2align	6
.LBB3_345:                              ;   in Loop: Header=BB3_348 Depth=2
	s_or_b32 exec_lo, exec_lo, s5
	v_readfirstlane_b32 s5, v4
	s_cmp_eq_u32 s5, 0
	s_cbranch_scc1 .LBB3_347
; %bb.346:                              ;   in Loop: Header=BB3_348 Depth=2
	s_sleep 1
	s_cbranch_execnz .LBB3_348
	s_branch .LBB3_350
	.p2align	6
.LBB3_347:                              ;   in Loop: Header=BB3_279 Depth=1
	s_branch .LBB3_350
.LBB3_348:                              ;   Parent Loop BB3_279 Depth=1
                                        ; =>  This Inner Loop Header: Depth=2
	v_mov_b32_e32 v4, 1
	s_and_saveexec_b32 s5, s4
	s_cbranch_execz .LBB3_345
; %bb.349:                              ;   in Loop: Header=BB3_348 Depth=2
	global_load_dword v4, v[29:30], off offset:20 glc dlc
	s_waitcnt vmcnt(0)
	buffer_gl1_inv
	buffer_gl0_inv
	v_and_b32_e32 v4, 1, v4
	s_branch .LBB3_345
.LBB3_350:                              ;   in Loop: Header=BB3_279 Depth=1
	global_load_dwordx4 v[2:5], v[2:3], off
	s_and_saveexec_b32 s5, s4
	s_cbranch_execz .LBB3_278
; %bb.351:                              ;   in Loop: Header=BB3_279 Depth=1
	s_clause 0x2
	global_load_dwordx2 v[4:5], v6, s[26:27] offset:40
	global_load_dwordx2 v[13:14], v6, s[26:27] offset:24 glc dlc
	global_load_dwordx2 v[11:12], v6, s[26:27]
	s_waitcnt vmcnt(2)
	v_add_co_u32 v15, vcc_lo, v4, 1
	v_add_co_ci_u32_e32 v16, vcc_lo, 0, v5, vcc_lo
	v_add_co_u32 v9, vcc_lo, v15, s18
	v_add_co_ci_u32_e32 v10, vcc_lo, s19, v16, vcc_lo
	v_cmp_eq_u64_e32 vcc_lo, 0, v[9:10]
	v_cndmask_b32_e32 v10, v10, v16, vcc_lo
	v_cndmask_b32_e32 v9, v9, v15, vcc_lo
	v_and_b32_e32 v5, v10, v5
	v_and_b32_e32 v4, v9, v4
	v_mul_lo_u32 v5, v5, 24
	v_mul_hi_u32 v15, v4, 24
	v_mul_lo_u32 v4, v4, 24
	v_add_nc_u32_e32 v5, v15, v5
	s_waitcnt vmcnt(0)
	v_add_co_u32 v4, vcc_lo, v11, v4
	v_mov_b32_e32 v11, v13
	v_add_co_ci_u32_e32 v5, vcc_lo, v12, v5, vcc_lo
	v_mov_b32_e32 v12, v14
	global_store_dwordx2 v[4:5], v[13:14], off
	s_waitcnt_vscnt null, 0x0
	global_atomic_cmpswap_x2 v[11:12], v6, v[9:12], s[26:27] offset:24 glc
	s_waitcnt vmcnt(0)
	v_cmp_ne_u64_e32 vcc_lo, v[11:12], v[13:14]
	s_and_b32 exec_lo, exec_lo, vcc_lo
	s_cbranch_execz .LBB3_278
; %bb.352:                              ;   in Loop: Header=BB3_279 Depth=1
	s_mov_b32 s4, 0
.LBB3_353:                              ;   Parent Loop BB3_279 Depth=1
                                        ; =>  This Inner Loop Header: Depth=2
	s_sleep 1
	global_store_dwordx2 v[4:5], v[11:12], off
	s_waitcnt_vscnt null, 0x0
	global_atomic_cmpswap_x2 v[13:14], v6, v[9:12], s[26:27] offset:24 glc
	s_waitcnt vmcnt(0)
	v_cmp_eq_u64_e32 vcc_lo, v[13:14], v[11:12]
	v_mov_b32_e32 v11, v13
	v_mov_b32_e32 v12, v14
	s_or_b32 s4, vcc_lo, s4
	s_andn2_b32 exec_lo, exec_lo, s4
	s_cbranch_execnz .LBB3_353
	s_branch .LBB3_278
.LBB3_354:
	s_branch .LBB3_383
.LBB3_355:
                                        ; implicit-def: $vgpr2_vgpr3
	s_cbranch_execz .LBB3_383
; %bb.356:
	v_readfirstlane_b32 s4, v50
	v_mov_b32_e32 v8, 0
	v_mov_b32_e32 v9, 0
	v_cmp_eq_u32_e64 s4, s4, v50
	s_and_saveexec_b32 s5, s4
	s_cbranch_execz .LBB3_362
; %bb.357:
	s_waitcnt vmcnt(0)
	v_mov_b32_e32 v2, 0
	s_mov_b32 s6, exec_lo
	global_load_dwordx2 v[5:6], v2, s[26:27] offset:24 glc dlc
	s_waitcnt vmcnt(0)
	buffer_gl1_inv
	buffer_gl0_inv
	s_clause 0x1
	global_load_dwordx2 v[3:4], v2, s[26:27] offset:40
	global_load_dwordx2 v[7:8], v2, s[26:27]
	s_waitcnt vmcnt(1)
	v_and_b32_e32 v4, v4, v6
	v_and_b32_e32 v3, v3, v5
	v_mul_lo_u32 v4, v4, 24
	v_mul_hi_u32 v9, v3, 24
	v_mul_lo_u32 v3, v3, 24
	v_add_nc_u32_e32 v4, v9, v4
	s_waitcnt vmcnt(0)
	v_add_co_u32 v3, vcc_lo, v7, v3
	v_add_co_ci_u32_e32 v4, vcc_lo, v8, v4, vcc_lo
	global_load_dwordx2 v[3:4], v[3:4], off glc dlc
	s_waitcnt vmcnt(0)
	global_atomic_cmpswap_x2 v[8:9], v2, v[3:6], s[26:27] offset:24 glc
	s_waitcnt vmcnt(0)
	buffer_gl1_inv
	buffer_gl0_inv
	v_cmpx_ne_u64_e64 v[8:9], v[5:6]
	s_cbranch_execz .LBB3_361
; %bb.358:
	s_mov_b32 s7, 0
	.p2align	6
.LBB3_359:                              ; =>This Inner Loop Header: Depth=1
	s_sleep 1
	s_clause 0x1
	global_load_dwordx2 v[3:4], v2, s[26:27] offset:40
	global_load_dwordx2 v[10:11], v2, s[26:27]
	v_mov_b32_e32 v5, v8
	v_mov_b32_e32 v6, v9
	s_waitcnt vmcnt(1)
	v_and_b32_e32 v3, v3, v5
	v_and_b32_e32 v4, v4, v6
	s_waitcnt vmcnt(0)
	v_mad_u64_u32 v[7:8], null, v3, 24, v[10:11]
	v_mov_b32_e32 v3, v8
	v_mad_u64_u32 v[3:4], null, v4, 24, v[3:4]
	v_mov_b32_e32 v8, v3
	global_load_dwordx2 v[3:4], v[7:8], off glc dlc
	s_waitcnt vmcnt(0)
	global_atomic_cmpswap_x2 v[8:9], v2, v[3:6], s[26:27] offset:24 glc
	s_waitcnt vmcnt(0)
	buffer_gl1_inv
	buffer_gl0_inv
	v_cmp_eq_u64_e32 vcc_lo, v[8:9], v[5:6]
	s_or_b32 s7, vcc_lo, s7
	s_andn2_b32 exec_lo, exec_lo, s7
	s_cbranch_execnz .LBB3_359
; %bb.360:
	s_or_b32 exec_lo, exec_lo, s7
.LBB3_361:
	s_or_b32 exec_lo, exec_lo, s6
.LBB3_362:
	s_or_b32 exec_lo, exec_lo, s5
	s_waitcnt vmcnt(0)
	v_mov_b32_e32 v2, 0
	v_readfirstlane_b32 s6, v8
	v_readfirstlane_b32 s7, v9
	s_mov_b32 s5, exec_lo
	s_clause 0x1
	global_load_dwordx2 v[10:11], v2, s[26:27] offset:40
	global_load_dwordx4 v[4:7], v2, s[26:27]
	s_waitcnt vmcnt(1)
	v_readfirstlane_b32 s10, v10
	v_readfirstlane_b32 s11, v11
	s_and_b64 s[10:11], s[6:7], s[10:11]
	s_mul_i32 s16, s11, 24
	s_mul_hi_u32 s17, s10, 24
	s_mul_i32 s18, s10, 24
	s_add_i32 s17, s17, s16
	s_waitcnt vmcnt(0)
	v_add_co_u32 v8, vcc_lo, v4, s18
	v_add_co_ci_u32_e32 v9, vcc_lo, s17, v5, vcc_lo
	s_and_saveexec_b32 s16, s4
	s_cbranch_execz .LBB3_364
; %bb.363:
	v_mov_b32_e32 v10, s5
	v_mov_b32_e32 v11, v2
	v_mov_b32_e32 v12, 2
	v_mov_b32_e32 v13, 1
	global_store_dwordx4 v[8:9], v[10:13], off offset:8
.LBB3_364:
	s_or_b32 exec_lo, exec_lo, s16
	s_lshl_b64 s[10:11], s[10:11], 12
	s_mov_b32 s16, 0
	v_add_co_u32 v6, vcc_lo, v6, s10
	v_add_co_ci_u32_e32 v7, vcc_lo, s11, v7, vcc_lo
	s_mov_b32 s17, s16
	v_readfirstlane_b32 s10, v6
	v_add_co_u32 v6, vcc_lo, v6, v39
	s_mov_b32 s18, s16
	s_mov_b32 s19, s16
	v_and_or_b32 v0, 0xffffff1f, v0, 32
	v_mov_b32_e32 v3, v2
	v_readfirstlane_b32 s11, v7
	v_mov_b32_e32 v10, s16
	v_add_co_ci_u32_e32 v7, vcc_lo, 0, v7, vcc_lo
	v_mov_b32_e32 v11, s17
	v_mov_b32_e32 v12, s18
	;; [unrolled: 1-line block ×3, first 2 shown]
	global_store_dwordx4 v39, v[0:3], s[10:11]
	global_store_dwordx4 v39, v[10:13], s[10:11] offset:16
	global_store_dwordx4 v39, v[10:13], s[10:11] offset:32
	;; [unrolled: 1-line block ×3, first 2 shown]
	s_and_saveexec_b32 s5, s4
	s_cbranch_execz .LBB3_372
; %bb.365:
	v_mov_b32_e32 v10, 0
	v_mov_b32_e32 v11, s6
	;; [unrolled: 1-line block ×3, first 2 shown]
	s_clause 0x1
	global_load_dwordx2 v[13:14], v10, s[26:27] offset:32 glc dlc
	global_load_dwordx2 v[0:1], v10, s[26:27] offset:40
	s_waitcnt vmcnt(0)
	v_readfirstlane_b32 s10, v0
	v_readfirstlane_b32 s11, v1
	s_and_b64 s[10:11], s[10:11], s[6:7]
	s_mul_i32 s11, s11, 24
	s_mul_hi_u32 s16, s10, 24
	s_mul_i32 s10, s10, 24
	s_add_i32 s16, s16, s11
	v_add_co_u32 v4, vcc_lo, v4, s10
	v_add_co_ci_u32_e32 v5, vcc_lo, s16, v5, vcc_lo
	s_mov_b32 s10, exec_lo
	global_store_dwordx2 v[4:5], v[13:14], off
	s_waitcnt_vscnt null, 0x0
	global_atomic_cmpswap_x2 v[2:3], v10, v[11:14], s[26:27] offset:32 glc
	s_waitcnt vmcnt(0)
	v_cmpx_ne_u64_e64 v[2:3], v[13:14]
	s_cbranch_execz .LBB3_368
; %bb.366:
	s_mov_b32 s11, 0
.LBB3_367:                              ; =>This Inner Loop Header: Depth=1
	v_mov_b32_e32 v0, s6
	v_mov_b32_e32 v1, s7
	s_sleep 1
	global_store_dwordx2 v[4:5], v[2:3], off
	s_waitcnt_vscnt null, 0x0
	global_atomic_cmpswap_x2 v[0:1], v10, v[0:3], s[26:27] offset:32 glc
	s_waitcnt vmcnt(0)
	v_cmp_eq_u64_e32 vcc_lo, v[0:1], v[2:3]
	v_mov_b32_e32 v3, v1
	v_mov_b32_e32 v2, v0
	s_or_b32 s11, vcc_lo, s11
	s_andn2_b32 exec_lo, exec_lo, s11
	s_cbranch_execnz .LBB3_367
.LBB3_368:
	s_or_b32 exec_lo, exec_lo, s10
	v_mov_b32_e32 v3, 0
	s_mov_b32 s11, exec_lo
	s_mov_b32 s10, exec_lo
	v_mbcnt_lo_u32_b32 v2, s11, 0
	global_load_dwordx2 v[0:1], v3, s[26:27] offset:16
	v_cmpx_eq_u32_e32 0, v2
	s_cbranch_execz .LBB3_370
; %bb.369:
	s_bcnt1_i32_b32 s11, s11
	v_mov_b32_e32 v2, s11
	s_waitcnt vmcnt(0)
	global_atomic_add_x2 v[0:1], v[2:3], off offset:8
.LBB3_370:
	s_or_b32 exec_lo, exec_lo, s10
	s_waitcnt vmcnt(0)
	global_load_dwordx2 v[2:3], v[0:1], off offset:16
	s_waitcnt vmcnt(0)
	v_cmp_eq_u64_e32 vcc_lo, 0, v[2:3]
	s_cbranch_vccnz .LBB3_372
; %bb.371:
	global_load_dword v0, v[0:1], off offset:24
	v_mov_b32_e32 v1, 0
	s_waitcnt vmcnt(0)
	v_and_b32_e32 v4, 0x7fffff, v0
	s_waitcnt_vscnt null, 0x0
	global_store_dwordx2 v[2:3], v[0:1], off
	v_readfirstlane_b32 m0, v4
	s_sendmsg sendmsg(MSG_INTERRUPT)
.LBB3_372:
	s_or_b32 exec_lo, exec_lo, s5
	s_branch .LBB3_376
	.p2align	6
.LBB3_373:                              ;   in Loop: Header=BB3_376 Depth=1
	s_or_b32 exec_lo, exec_lo, s5
	v_readfirstlane_b32 s5, v0
	s_cmp_eq_u32 s5, 0
	s_cbranch_scc1 .LBB3_375
; %bb.374:                              ;   in Loop: Header=BB3_376 Depth=1
	s_sleep 1
	s_cbranch_execnz .LBB3_376
	s_branch .LBB3_378
	.p2align	6
.LBB3_375:
	s_branch .LBB3_378
.LBB3_376:                              ; =>This Inner Loop Header: Depth=1
	v_mov_b32_e32 v0, 1
	s_and_saveexec_b32 s5, s4
	s_cbranch_execz .LBB3_373
; %bb.377:                              ;   in Loop: Header=BB3_376 Depth=1
	global_load_dword v0, v[8:9], off offset:20 glc dlc
	s_waitcnt vmcnt(0)
	buffer_gl1_inv
	buffer_gl0_inv
	v_and_b32_e32 v0, 1, v0
	s_branch .LBB3_373
.LBB3_378:
	global_load_dwordx2 v[2:3], v[6:7], off
	s_and_saveexec_b32 s5, s4
	s_cbranch_execz .LBB3_382
; %bb.379:
	v_mov_b32_e32 v8, 0
	s_clause 0x2
	global_load_dwordx2 v[0:1], v8, s[26:27] offset:40
	global_load_dwordx2 v[9:10], v8, s[26:27] offset:24 glc dlc
	global_load_dwordx2 v[6:7], v8, s[26:27]
	s_waitcnt vmcnt(2)
	v_add_co_u32 v11, vcc_lo, v0, 1
	v_add_co_ci_u32_e32 v12, vcc_lo, 0, v1, vcc_lo
	v_add_co_u32 v4, vcc_lo, v11, s6
	v_add_co_ci_u32_e32 v5, vcc_lo, s7, v12, vcc_lo
	v_cmp_eq_u64_e32 vcc_lo, 0, v[4:5]
	v_cndmask_b32_e32 v5, v5, v12, vcc_lo
	v_cndmask_b32_e32 v4, v4, v11, vcc_lo
	v_and_b32_e32 v1, v5, v1
	v_and_b32_e32 v0, v4, v0
	v_mul_lo_u32 v1, v1, 24
	v_mul_hi_u32 v11, v0, 24
	v_mul_lo_u32 v0, v0, 24
	v_add_nc_u32_e32 v1, v11, v1
	s_waitcnt vmcnt(0)
	v_add_co_u32 v0, vcc_lo, v6, v0
	v_mov_b32_e32 v6, v9
	v_add_co_ci_u32_e32 v1, vcc_lo, v7, v1, vcc_lo
	v_mov_b32_e32 v7, v10
	global_store_dwordx2 v[0:1], v[9:10], off
	s_waitcnt_vscnt null, 0x0
	global_atomic_cmpswap_x2 v[6:7], v8, v[4:7], s[26:27] offset:24 glc
	s_waitcnt vmcnt(0)
	v_cmp_ne_u64_e32 vcc_lo, v[6:7], v[9:10]
	s_and_b32 exec_lo, exec_lo, vcc_lo
	s_cbranch_execz .LBB3_382
; %bb.380:
	s_mov_b32 s4, 0
.LBB3_381:                              ; =>This Inner Loop Header: Depth=1
	s_sleep 1
	global_store_dwordx2 v[0:1], v[6:7], off
	s_waitcnt_vscnt null, 0x0
	global_atomic_cmpswap_x2 v[9:10], v8, v[4:7], s[26:27] offset:24 glc
	s_waitcnt vmcnt(0)
	v_cmp_eq_u64_e32 vcc_lo, v[9:10], v[6:7]
	v_mov_b32_e32 v6, v9
	v_mov_b32_e32 v7, v10
	s_or_b32 s4, vcc_lo, s4
	s_andn2_b32 exec_lo, exec_lo, s4
	s_cbranch_execnz .LBB3_381
.LBB3_382:
	s_or_b32 exec_lo, exec_lo, s5
.LBB3_383:
	v_readfirstlane_b32 s4, v50
	s_waitcnt vmcnt(0)
	v_mov_b32_e32 v0, 0
	v_mov_b32_e32 v1, 0
	v_cmp_eq_u32_e64 s4, s4, v50
	s_and_saveexec_b32 s5, s4
	s_cbranch_execz .LBB3_389
; %bb.384:
	v_mov_b32_e32 v4, 0
	s_mov_b32 s6, exec_lo
	global_load_dwordx2 v[7:8], v4, s[26:27] offset:24 glc dlc
	s_waitcnt vmcnt(0)
	buffer_gl1_inv
	buffer_gl0_inv
	s_clause 0x1
	global_load_dwordx2 v[0:1], v4, s[26:27] offset:40
	global_load_dwordx2 v[5:6], v4, s[26:27]
	s_waitcnt vmcnt(1)
	v_and_b32_e32 v1, v1, v8
	v_and_b32_e32 v0, v0, v7
	v_mul_lo_u32 v1, v1, 24
	v_mul_hi_u32 v9, v0, 24
	v_mul_lo_u32 v0, v0, 24
	v_add_nc_u32_e32 v1, v9, v1
	s_waitcnt vmcnt(0)
	v_add_co_u32 v0, vcc_lo, v5, v0
	v_add_co_ci_u32_e32 v1, vcc_lo, v6, v1, vcc_lo
	global_load_dwordx2 v[5:6], v[0:1], off glc dlc
	s_waitcnt vmcnt(0)
	global_atomic_cmpswap_x2 v[0:1], v4, v[5:8], s[26:27] offset:24 glc
	s_waitcnt vmcnt(0)
	buffer_gl1_inv
	buffer_gl0_inv
	v_cmpx_ne_u64_e64 v[0:1], v[7:8]
	s_cbranch_execz .LBB3_388
; %bb.385:
	s_mov_b32 s7, 0
	.p2align	6
.LBB3_386:                              ; =>This Inner Loop Header: Depth=1
	s_sleep 1
	s_clause 0x1
	global_load_dwordx2 v[5:6], v4, s[26:27] offset:40
	global_load_dwordx2 v[9:10], v4, s[26:27]
	v_mov_b32_e32 v8, v1
	v_mov_b32_e32 v7, v0
	s_waitcnt vmcnt(1)
	v_and_b32_e32 v0, v5, v7
	v_and_b32_e32 v5, v6, v8
	s_waitcnt vmcnt(0)
	v_mad_u64_u32 v[0:1], null, v0, 24, v[9:10]
	v_mad_u64_u32 v[5:6], null, v5, 24, v[1:2]
	v_mov_b32_e32 v1, v5
	global_load_dwordx2 v[5:6], v[0:1], off glc dlc
	s_waitcnt vmcnt(0)
	global_atomic_cmpswap_x2 v[0:1], v4, v[5:8], s[26:27] offset:24 glc
	s_waitcnt vmcnt(0)
	buffer_gl1_inv
	buffer_gl0_inv
	v_cmp_eq_u64_e32 vcc_lo, v[0:1], v[7:8]
	s_or_b32 s7, vcc_lo, s7
	s_andn2_b32 exec_lo, exec_lo, s7
	s_cbranch_execnz .LBB3_386
; %bb.387:
	s_or_b32 exec_lo, exec_lo, s7
.LBB3_388:
	s_or_b32 exec_lo, exec_lo, s6
.LBB3_389:
	s_or_b32 exec_lo, exec_lo, s5
	v_mov_b32_e32 v5, 0
	v_readfirstlane_b32 s6, v0
	v_readfirstlane_b32 s7, v1
	s_mov_b32 s5, exec_lo
	s_clause 0x1
	global_load_dwordx2 v[10:11], v5, s[26:27] offset:40
	global_load_dwordx4 v[6:9], v5, s[26:27]
	s_waitcnt vmcnt(1)
	v_readfirstlane_b32 s10, v10
	v_readfirstlane_b32 s11, v11
	s_and_b64 s[10:11], s[6:7], s[10:11]
	s_mul_i32 s16, s11, 24
	s_mul_hi_u32 s17, s10, 24
	s_mul_i32 s18, s10, 24
	s_add_i32 s17, s17, s16
	s_waitcnt vmcnt(0)
	v_add_co_u32 v10, vcc_lo, v6, s18
	v_add_co_ci_u32_e32 v11, vcc_lo, s17, v7, vcc_lo
	s_and_saveexec_b32 s16, s4
	s_cbranch_execz .LBB3_391
; %bb.390:
	v_mov_b32_e32 v4, s5
	v_mov_b32_e32 v13, v5
	;; [unrolled: 1-line block ×5, first 2 shown]
	global_store_dwordx4 v[10:11], v[12:15], off offset:8
.LBB3_391:
	s_or_b32 exec_lo, exec_lo, s16
	s_lshl_b64 s[10:11], s[10:11], 12
	s_mov_b32 s16, 0
	v_add_co_u32 v0, vcc_lo, v8, s10
	v_add_co_ci_u32_e32 v1, vcc_lo, s11, v9, vcc_lo
	s_mov_b32 s17, s16
	s_mov_b32 s18, s16
	;; [unrolled: 1-line block ×3, first 2 shown]
	v_and_or_b32 v2, 0xffffff1d, v2, 34
	v_mov_b32_e32 v4, 10
	v_readfirstlane_b32 s10, v0
	v_readfirstlane_b32 s11, v1
	v_mov_b32_e32 v12, s16
	v_mov_b32_e32 v13, s17
	;; [unrolled: 1-line block ×4, first 2 shown]
	global_store_dwordx4 v39, v[2:5], s[10:11]
	global_store_dwordx4 v39, v[12:15], s[10:11] offset:16
	global_store_dwordx4 v39, v[12:15], s[10:11] offset:32
	;; [unrolled: 1-line block ×3, first 2 shown]
	s_and_saveexec_b32 s5, s4
	s_cbranch_execz .LBB3_399
; %bb.392:
	v_mov_b32_e32 v8, 0
	v_mov_b32_e32 v12, s6
	;; [unrolled: 1-line block ×3, first 2 shown]
	s_clause 0x1
	global_load_dwordx2 v[14:15], v8, s[26:27] offset:32 glc dlc
	global_load_dwordx2 v[0:1], v8, s[26:27] offset:40
	s_waitcnt vmcnt(0)
	v_readfirstlane_b32 s10, v0
	v_readfirstlane_b32 s11, v1
	s_and_b64 s[10:11], s[10:11], s[6:7]
	s_mul_i32 s11, s11, 24
	s_mul_hi_u32 s16, s10, 24
	s_mul_i32 s10, s10, 24
	s_add_i32 s16, s16, s11
	v_add_co_u32 v4, vcc_lo, v6, s10
	v_add_co_ci_u32_e32 v5, vcc_lo, s16, v7, vcc_lo
	s_mov_b32 s10, exec_lo
	global_store_dwordx2 v[4:5], v[14:15], off
	s_waitcnt_vscnt null, 0x0
	global_atomic_cmpswap_x2 v[2:3], v8, v[12:15], s[26:27] offset:32 glc
	s_waitcnt vmcnt(0)
	v_cmpx_ne_u64_e64 v[2:3], v[14:15]
	s_cbranch_execz .LBB3_395
; %bb.393:
	s_mov_b32 s11, 0
.LBB3_394:                              ; =>This Inner Loop Header: Depth=1
	v_mov_b32_e32 v0, s6
	v_mov_b32_e32 v1, s7
	s_sleep 1
	global_store_dwordx2 v[4:5], v[2:3], off
	s_waitcnt_vscnt null, 0x0
	global_atomic_cmpswap_x2 v[0:1], v8, v[0:3], s[26:27] offset:32 glc
	s_waitcnt vmcnt(0)
	v_cmp_eq_u64_e32 vcc_lo, v[0:1], v[2:3]
	v_mov_b32_e32 v3, v1
	v_mov_b32_e32 v2, v0
	s_or_b32 s11, vcc_lo, s11
	s_andn2_b32 exec_lo, exec_lo, s11
	s_cbranch_execnz .LBB3_394
.LBB3_395:
	s_or_b32 exec_lo, exec_lo, s10
	v_mov_b32_e32 v3, 0
	s_mov_b32 s11, exec_lo
	s_mov_b32 s10, exec_lo
	v_mbcnt_lo_u32_b32 v2, s11, 0
	global_load_dwordx2 v[0:1], v3, s[26:27] offset:16
	v_cmpx_eq_u32_e32 0, v2
	s_cbranch_execz .LBB3_397
; %bb.396:
	s_bcnt1_i32_b32 s11, s11
	v_mov_b32_e32 v2, s11
	s_waitcnt vmcnt(0)
	global_atomic_add_x2 v[0:1], v[2:3], off offset:8
.LBB3_397:
	s_or_b32 exec_lo, exec_lo, s10
	s_waitcnt vmcnt(0)
	global_load_dwordx2 v[2:3], v[0:1], off offset:16
	s_waitcnt vmcnt(0)
	v_cmp_eq_u64_e32 vcc_lo, 0, v[2:3]
	s_cbranch_vccnz .LBB3_399
; %bb.398:
	global_load_dword v0, v[0:1], off offset:24
	v_mov_b32_e32 v1, 0
	s_waitcnt vmcnt(0)
	v_and_b32_e32 v4, 0x7fffff, v0
	s_waitcnt_vscnt null, 0x0
	global_store_dwordx2 v[2:3], v[0:1], off
	v_readfirstlane_b32 m0, v4
	s_sendmsg sendmsg(MSG_INTERRUPT)
.LBB3_399:
	s_or_b32 exec_lo, exec_lo, s5
	s_branch .LBB3_403
	.p2align	6
.LBB3_400:                              ;   in Loop: Header=BB3_403 Depth=1
	s_or_b32 exec_lo, exec_lo, s5
	v_readfirstlane_b32 s5, v0
	s_cmp_eq_u32 s5, 0
	s_cbranch_scc1 .LBB3_402
; %bb.401:                              ;   in Loop: Header=BB3_403 Depth=1
	s_sleep 1
	s_cbranch_execnz .LBB3_403
	s_branch .LBB3_405
	.p2align	6
.LBB3_402:
	s_branch .LBB3_405
.LBB3_403:                              ; =>This Inner Loop Header: Depth=1
	v_mov_b32_e32 v0, 1
	s_and_saveexec_b32 s5, s4
	s_cbranch_execz .LBB3_400
; %bb.404:                              ;   in Loop: Header=BB3_403 Depth=1
	global_load_dword v0, v[10:11], off offset:20 glc dlc
	s_waitcnt vmcnt(0)
	buffer_gl1_inv
	buffer_gl0_inv
	v_and_b32_e32 v0, 1, v0
	s_branch .LBB3_400
.LBB3_405:
	s_and_saveexec_b32 s5, s4
	s_cbranch_execz .LBB3_409
; %bb.406:
	v_mov_b32_e32 v6, 0
	s_clause 0x2
	global_load_dwordx2 v[2:3], v6, s[26:27] offset:40
	global_load_dwordx2 v[7:8], v6, s[26:27] offset:24 glc dlc
	global_load_dwordx2 v[4:5], v6, s[26:27]
	s_waitcnt vmcnt(2)
	v_add_co_u32 v9, vcc_lo, v2, 1
	v_add_co_ci_u32_e32 v10, vcc_lo, 0, v3, vcc_lo
	v_add_co_u32 v0, vcc_lo, v9, s6
	v_add_co_ci_u32_e32 v1, vcc_lo, s7, v10, vcc_lo
	v_cmp_eq_u64_e32 vcc_lo, 0, v[0:1]
	v_cndmask_b32_e32 v1, v1, v10, vcc_lo
	v_cndmask_b32_e32 v0, v0, v9, vcc_lo
	v_and_b32_e32 v3, v1, v3
	v_and_b32_e32 v2, v0, v2
	v_mul_lo_u32 v3, v3, 24
	v_mul_hi_u32 v9, v2, 24
	v_mul_lo_u32 v2, v2, 24
	v_add_nc_u32_e32 v3, v9, v3
	s_waitcnt vmcnt(0)
	v_add_co_u32 v4, vcc_lo, v4, v2
	v_mov_b32_e32 v2, v7
	v_add_co_ci_u32_e32 v5, vcc_lo, v5, v3, vcc_lo
	v_mov_b32_e32 v3, v8
	global_store_dwordx2 v[4:5], v[7:8], off
	s_waitcnt_vscnt null, 0x0
	global_atomic_cmpswap_x2 v[2:3], v6, v[0:3], s[26:27] offset:24 glc
	s_waitcnt vmcnt(0)
	v_cmp_ne_u64_e32 vcc_lo, v[2:3], v[7:8]
	s_and_b32 exec_lo, exec_lo, vcc_lo
	s_cbranch_execz .LBB3_409
; %bb.407:
	s_mov_b32 s4, 0
.LBB3_408:                              ; =>This Inner Loop Header: Depth=1
	s_sleep 1
	global_store_dwordx2 v[4:5], v[2:3], off
	s_waitcnt_vscnt null, 0x0
	global_atomic_cmpswap_x2 v[7:8], v6, v[0:3], s[26:27] offset:24 glc
	s_waitcnt vmcnt(0)
	v_cmp_eq_u64_e32 vcc_lo, v[7:8], v[2:3]
	v_mov_b32_e32 v2, v7
	v_mov_b32_e32 v3, v8
	s_or_b32 s4, vcc_lo, s4
	s_andn2_b32 exec_lo, exec_lo, s4
	s_cbranch_execnz .LBB3_408
.LBB3_409:
	s_or_b32 exec_lo, exec_lo, s5
	v_readfirstlane_b32 s4, v50
	v_mov_b32_e32 v6, 0
	v_mov_b32_e32 v7, 0
	v_cmp_eq_u32_e64 s4, s4, v50
	s_and_saveexec_b32 s5, s4
	s_cbranch_execz .LBB3_415
; %bb.410:
	v_mov_b32_e32 v0, 0
	s_mov_b32 s6, exec_lo
	global_load_dwordx2 v[3:4], v0, s[26:27] offset:24 glc dlc
	s_waitcnt vmcnt(0)
	buffer_gl1_inv
	buffer_gl0_inv
	s_clause 0x1
	global_load_dwordx2 v[1:2], v0, s[26:27] offset:40
	global_load_dwordx2 v[5:6], v0, s[26:27]
	s_waitcnt vmcnt(1)
	v_and_b32_e32 v2, v2, v4
	v_and_b32_e32 v1, v1, v3
	v_mul_lo_u32 v2, v2, 24
	v_mul_hi_u32 v7, v1, 24
	v_mul_lo_u32 v1, v1, 24
	v_add_nc_u32_e32 v2, v7, v2
	s_waitcnt vmcnt(0)
	v_add_co_u32 v1, vcc_lo, v5, v1
	v_add_co_ci_u32_e32 v2, vcc_lo, v6, v2, vcc_lo
	global_load_dwordx2 v[1:2], v[1:2], off glc dlc
	s_waitcnt vmcnt(0)
	global_atomic_cmpswap_x2 v[6:7], v0, v[1:4], s[26:27] offset:24 glc
	s_waitcnt vmcnt(0)
	buffer_gl1_inv
	buffer_gl0_inv
	v_cmpx_ne_u64_e64 v[6:7], v[3:4]
	s_cbranch_execz .LBB3_414
; %bb.411:
	s_mov_b32 s7, 0
	.p2align	6
.LBB3_412:                              ; =>This Inner Loop Header: Depth=1
	s_sleep 1
	s_clause 0x1
	global_load_dwordx2 v[1:2], v0, s[26:27] offset:40
	global_load_dwordx2 v[8:9], v0, s[26:27]
	v_mov_b32_e32 v3, v6
	v_mov_b32_e32 v4, v7
	s_waitcnt vmcnt(1)
	v_and_b32_e32 v1, v1, v3
	v_and_b32_e32 v2, v2, v4
	s_waitcnt vmcnt(0)
	v_mad_u64_u32 v[5:6], null, v1, 24, v[8:9]
	v_mov_b32_e32 v1, v6
	v_mad_u64_u32 v[1:2], null, v2, 24, v[1:2]
	v_mov_b32_e32 v6, v1
	global_load_dwordx2 v[1:2], v[5:6], off glc dlc
	s_waitcnt vmcnt(0)
	global_atomic_cmpswap_x2 v[6:7], v0, v[1:4], s[26:27] offset:24 glc
	s_waitcnt vmcnt(0)
	buffer_gl1_inv
	buffer_gl0_inv
	v_cmp_eq_u64_e32 vcc_lo, v[6:7], v[3:4]
	s_or_b32 s7, vcc_lo, s7
	s_andn2_b32 exec_lo, exec_lo, s7
	s_cbranch_execnz .LBB3_412
; %bb.413:
	s_or_b32 exec_lo, exec_lo, s7
.LBB3_414:
	s_or_b32 exec_lo, exec_lo, s6
.LBB3_415:
	s_or_b32 exec_lo, exec_lo, s5
	v_mov_b32_e32 v5, 0
	v_readfirstlane_b32 s6, v6
	v_readfirstlane_b32 s7, v7
	s_mov_b32 s5, exec_lo
	s_clause 0x1
	global_load_dwordx2 v[8:9], v5, s[26:27] offset:40
	global_load_dwordx4 v[0:3], v5, s[26:27]
	s_waitcnt vmcnt(1)
	v_readfirstlane_b32 s10, v8
	v_readfirstlane_b32 s11, v9
	s_and_b64 s[10:11], s[6:7], s[10:11]
	s_mul_i32 s16, s11, 24
	s_mul_hi_u32 s17, s10, 24
	s_mul_i32 s18, s10, 24
	s_add_i32 s17, s17, s16
	s_waitcnt vmcnt(0)
	v_add_co_u32 v8, vcc_lo, v0, s18
	v_add_co_ci_u32_e32 v9, vcc_lo, s17, v1, vcc_lo
	s_and_saveexec_b32 s16, s4
	s_cbranch_execz .LBB3_417
; %bb.416:
	v_mov_b32_e32 v4, s5
	v_mov_b32_e32 v6, 2
	;; [unrolled: 1-line block ×3, first 2 shown]
	global_store_dwordx4 v[8:9], v[4:7], off offset:8
.LBB3_417:
	s_or_b32 exec_lo, exec_lo, s16
	s_lshl_b64 s[10:11], s[10:11], 12
	s_mov_b32 s16, 0
	v_add_co_u32 v2, vcc_lo, v2, s10
	v_add_co_ci_u32_e32 v3, vcc_lo, s11, v3, vcc_lo
	s_mov_b32 s17, s16
	v_add_co_u32 v10, vcc_lo, v2, v39
	s_mov_b32 s18, s16
	s_mov_b32 s19, s16
	v_mov_b32_e32 v4, 33
	v_mov_b32_e32 v6, v5
	;; [unrolled: 1-line block ×3, first 2 shown]
	v_readfirstlane_b32 s10, v2
	v_readfirstlane_b32 s11, v3
	v_mov_b32_e32 v12, s16
	v_add_co_ci_u32_e32 v11, vcc_lo, 0, v3, vcc_lo
	v_mov_b32_e32 v13, s17
	v_mov_b32_e32 v14, s18
	;; [unrolled: 1-line block ×3, first 2 shown]
	global_store_dwordx4 v39, v[4:7], s[10:11]
	global_store_dwordx4 v39, v[12:15], s[10:11] offset:16
	global_store_dwordx4 v39, v[12:15], s[10:11] offset:32
	;; [unrolled: 1-line block ×3, first 2 shown]
	s_and_saveexec_b32 s5, s4
	s_cbranch_execz .LBB3_425
; %bb.418:
	v_mov_b32_e32 v6, 0
	v_mov_b32_e32 v12, s6
	;; [unrolled: 1-line block ×3, first 2 shown]
	s_clause 0x1
	global_load_dwordx2 v[14:15], v6, s[26:27] offset:32 glc dlc
	global_load_dwordx2 v[2:3], v6, s[26:27] offset:40
	s_waitcnt vmcnt(0)
	v_readfirstlane_b32 s10, v2
	v_readfirstlane_b32 s11, v3
	s_and_b64 s[10:11], s[10:11], s[6:7]
	s_mul_i32 s11, s11, 24
	s_mul_hi_u32 s16, s10, 24
	s_mul_i32 s10, s10, 24
	s_add_i32 s16, s16, s11
	v_add_co_u32 v4, vcc_lo, v0, s10
	v_add_co_ci_u32_e32 v5, vcc_lo, s16, v1, vcc_lo
	s_mov_b32 s10, exec_lo
	global_store_dwordx2 v[4:5], v[14:15], off
	s_waitcnt_vscnt null, 0x0
	global_atomic_cmpswap_x2 v[2:3], v6, v[12:15], s[26:27] offset:32 glc
	s_waitcnt vmcnt(0)
	v_cmpx_ne_u64_e64 v[2:3], v[14:15]
	s_cbranch_execz .LBB3_421
; %bb.419:
	s_mov_b32 s11, 0
.LBB3_420:                              ; =>This Inner Loop Header: Depth=1
	v_mov_b32_e32 v0, s6
	v_mov_b32_e32 v1, s7
	s_sleep 1
	global_store_dwordx2 v[4:5], v[2:3], off
	s_waitcnt_vscnt null, 0x0
	global_atomic_cmpswap_x2 v[0:1], v6, v[0:3], s[26:27] offset:32 glc
	s_waitcnt vmcnt(0)
	v_cmp_eq_u64_e32 vcc_lo, v[0:1], v[2:3]
	v_mov_b32_e32 v3, v1
	v_mov_b32_e32 v2, v0
	s_or_b32 s11, vcc_lo, s11
	s_andn2_b32 exec_lo, exec_lo, s11
	s_cbranch_execnz .LBB3_420
.LBB3_421:
	s_or_b32 exec_lo, exec_lo, s10
	v_mov_b32_e32 v3, 0
	s_mov_b32 s11, exec_lo
	s_mov_b32 s10, exec_lo
	v_mbcnt_lo_u32_b32 v2, s11, 0
	global_load_dwordx2 v[0:1], v3, s[26:27] offset:16
	v_cmpx_eq_u32_e32 0, v2
	s_cbranch_execz .LBB3_423
; %bb.422:
	s_bcnt1_i32_b32 s11, s11
	v_mov_b32_e32 v2, s11
	s_waitcnt vmcnt(0)
	global_atomic_add_x2 v[0:1], v[2:3], off offset:8
.LBB3_423:
	s_or_b32 exec_lo, exec_lo, s10
	s_waitcnt vmcnt(0)
	global_load_dwordx2 v[2:3], v[0:1], off offset:16
	s_waitcnt vmcnt(0)
	v_cmp_eq_u64_e32 vcc_lo, 0, v[2:3]
	s_cbranch_vccnz .LBB3_425
; %bb.424:
	global_load_dword v0, v[0:1], off offset:24
	v_mov_b32_e32 v1, 0
	s_waitcnt vmcnt(0)
	v_and_b32_e32 v4, 0x7fffff, v0
	s_waitcnt_vscnt null, 0x0
	global_store_dwordx2 v[2:3], v[0:1], off
	v_readfirstlane_b32 m0, v4
	s_sendmsg sendmsg(MSG_INTERRUPT)
.LBB3_425:
	s_or_b32 exec_lo, exec_lo, s5
	s_branch .LBB3_429
	.p2align	6
.LBB3_426:                              ;   in Loop: Header=BB3_429 Depth=1
	s_or_b32 exec_lo, exec_lo, s5
	v_readfirstlane_b32 s5, v0
	s_cmp_eq_u32 s5, 0
	s_cbranch_scc1 .LBB3_428
; %bb.427:                              ;   in Loop: Header=BB3_429 Depth=1
	s_sleep 1
	s_cbranch_execnz .LBB3_429
	s_branch .LBB3_431
	.p2align	6
.LBB3_428:
	s_branch .LBB3_431
.LBB3_429:                              ; =>This Inner Loop Header: Depth=1
	v_mov_b32_e32 v0, 1
	s_and_saveexec_b32 s5, s4
	s_cbranch_execz .LBB3_426
; %bb.430:                              ;   in Loop: Header=BB3_429 Depth=1
	global_load_dword v0, v[8:9], off offset:20 glc dlc
	s_waitcnt vmcnt(0)
	buffer_gl1_inv
	buffer_gl0_inv
	v_and_b32_e32 v0, 1, v0
	s_branch .LBB3_426
.LBB3_431:
	global_load_dwordx2 v[4:5], v[10:11], off
	s_and_saveexec_b32 s5, s4
	s_cbranch_execz .LBB3_435
; %bb.432:
	v_mov_b32_e32 v8, 0
	s_clause 0x2
	global_load_dwordx2 v[2:3], v8, s[26:27] offset:40
	global_load_dwordx2 v[9:10], v8, s[26:27] offset:24 glc dlc
	global_load_dwordx2 v[6:7], v8, s[26:27]
	s_waitcnt vmcnt(2)
	v_add_co_u32 v11, vcc_lo, v2, 1
	v_add_co_ci_u32_e32 v12, vcc_lo, 0, v3, vcc_lo
	v_add_co_u32 v0, vcc_lo, v11, s6
	v_add_co_ci_u32_e32 v1, vcc_lo, s7, v12, vcc_lo
	v_cmp_eq_u64_e32 vcc_lo, 0, v[0:1]
	v_cndmask_b32_e32 v1, v1, v12, vcc_lo
	v_cndmask_b32_e32 v0, v0, v11, vcc_lo
	v_and_b32_e32 v3, v1, v3
	v_and_b32_e32 v2, v0, v2
	v_mul_lo_u32 v3, v3, 24
	v_mul_hi_u32 v11, v2, 24
	v_mul_lo_u32 v2, v2, 24
	v_add_nc_u32_e32 v3, v11, v3
	s_waitcnt vmcnt(0)
	v_add_co_u32 v6, vcc_lo, v6, v2
	v_mov_b32_e32 v2, v9
	v_add_co_ci_u32_e32 v7, vcc_lo, v7, v3, vcc_lo
	v_mov_b32_e32 v3, v10
	global_store_dwordx2 v[6:7], v[9:10], off
	s_waitcnt_vscnt null, 0x0
	global_atomic_cmpswap_x2 v[2:3], v8, v[0:3], s[26:27] offset:24 glc
	s_waitcnt vmcnt(0)
	v_cmp_ne_u64_e32 vcc_lo, v[2:3], v[9:10]
	s_and_b32 exec_lo, exec_lo, vcc_lo
	s_cbranch_execz .LBB3_435
; %bb.433:
	s_mov_b32 s4, 0
.LBB3_434:                              ; =>This Inner Loop Header: Depth=1
	s_sleep 1
	global_store_dwordx2 v[6:7], v[2:3], off
	s_waitcnt_vscnt null, 0x0
	global_atomic_cmpswap_x2 v[9:10], v8, v[0:3], s[26:27] offset:24 glc
	s_waitcnt vmcnt(0)
	v_cmp_eq_u64_e32 vcc_lo, v[9:10], v[2:3]
	v_mov_b32_e32 v2, v9
	v_mov_b32_e32 v3, v10
	s_or_b32 s4, vcc_lo, s4
	s_andn2_b32 exec_lo, exec_lo, s4
	s_cbranch_execnz .LBB3_434
.LBB3_435:
	s_or_b32 exec_lo, exec_lo, s5
	s_and_b32 vcc_lo, exec_lo, s15
	s_cbranch_vccz .LBB3_514
; %bb.436:
	s_waitcnt vmcnt(0)
	v_and_b32_e32 v28, 2, v4
	v_mov_b32_e32 v7, 0
	v_and_b32_e32 v0, -3, v4
	v_mov_b32_e32 v1, v5
	v_mov_b32_e32 v8, 2
	;; [unrolled: 1-line block ×3, first 2 shown]
	s_mov_b64 s[10:11], 3
	s_getpc_b64 s[6:7]
	s_add_u32 s6, s6, .str.5@rel32@lo+4
	s_addc_u32 s7, s7, .str.5@rel32@hi+12
	s_branch .LBB3_438
.LBB3_437:                              ;   in Loop: Header=BB3_438 Depth=1
	s_or_b32 exec_lo, exec_lo, s5
	s_sub_u32 s10, s10, s16
	s_subb_u32 s11, s11, s17
	s_add_u32 s6, s6, s16
	s_addc_u32 s7, s7, s17
	s_cmp_lg_u64 s[10:11], 0
	s_cbranch_scc0 .LBB3_513
.LBB3_438:                              ; =>This Loop Header: Depth=1
                                        ;     Child Loop BB3_447 Depth 2
                                        ;     Child Loop BB3_443 Depth 2
	;; [unrolled: 1-line block ×11, first 2 shown]
	v_cmp_lt_u64_e64 s4, s[10:11], 56
	v_cmp_gt_u64_e64 s5, s[10:11], 7
                                        ; implicit-def: $vgpr2_vgpr3
                                        ; implicit-def: $sgpr22
	s_and_b32 s4, s4, exec_lo
	s_cselect_b32 s17, s11, 0
	s_cselect_b32 s16, s10, 56
	s_and_b32 vcc_lo, exec_lo, s5
	s_mov_b32 s4, -1
	s_cbranch_vccz .LBB3_445
; %bb.439:                              ;   in Loop: Header=BB3_438 Depth=1
	s_andn2_b32 vcc_lo, exec_lo, s4
	s_mov_b64 s[4:5], s[6:7]
	s_cbranch_vccz .LBB3_449
.LBB3_440:                              ;   in Loop: Header=BB3_438 Depth=1
	s_cmp_gt_u32 s22, 7
	s_cbranch_scc1 .LBB3_450
.LBB3_441:                              ;   in Loop: Header=BB3_438 Depth=1
	v_mov_b32_e32 v10, 0
	v_mov_b32_e32 v11, 0
	s_cmp_eq_u32 s22, 0
	s_cbranch_scc1 .LBB3_444
; %bb.442:                              ;   in Loop: Header=BB3_438 Depth=1
	s_mov_b64 s[18:19], 0
	s_mov_b64 s[20:21], 0
.LBB3_443:                              ;   Parent Loop BB3_438 Depth=1
                                        ; =>  This Inner Loop Header: Depth=2
	s_add_u32 s24, s4, s20
	s_addc_u32 s25, s5, s21
	s_add_u32 s20, s20, 1
	global_load_ubyte v6, v7, s[24:25]
	s_addc_u32 s21, s21, 0
	s_waitcnt vmcnt(0)
	v_and_b32_e32 v6, 0xffff, v6
	v_lshlrev_b64 v[12:13], s18, v[6:7]
	s_add_u32 s18, s18, 8
	s_addc_u32 s19, s19, 0
	s_cmp_lg_u32 s22, s20
	v_or_b32_e32 v10, v12, v10
	v_or_b32_e32 v11, v13, v11
	s_cbranch_scc1 .LBB3_443
.LBB3_444:                              ;   in Loop: Header=BB3_438 Depth=1
	s_mov_b32 s23, 0
	s_cbranch_execz .LBB3_451
	s_branch .LBB3_452
.LBB3_445:                              ;   in Loop: Header=BB3_438 Depth=1
	s_waitcnt vmcnt(0)
	v_mov_b32_e32 v2, 0
	v_mov_b32_e32 v3, 0
	s_cmp_eq_u64 s[10:11], 0
	s_mov_b64 s[4:5], 0
	s_cbranch_scc1 .LBB3_448
; %bb.446:                              ;   in Loop: Header=BB3_438 Depth=1
	v_mov_b32_e32 v2, 0
	v_mov_b32_e32 v3, 0
	s_lshl_b64 s[18:19], s[16:17], 3
	s_mov_b64 s[20:21], s[6:7]
.LBB3_447:                              ;   Parent Loop BB3_438 Depth=1
                                        ; =>  This Inner Loop Header: Depth=2
	global_load_ubyte v6, v7, s[20:21]
	s_waitcnt vmcnt(0)
	v_and_b32_e32 v6, 0xffff, v6
	v_lshlrev_b64 v[10:11], s4, v[6:7]
	s_add_u32 s4, s4, 8
	s_addc_u32 s5, s5, 0
	s_add_u32 s20, s20, 1
	s_addc_u32 s21, s21, 0
	s_cmp_lg_u32 s18, s4
	v_or_b32_e32 v2, v10, v2
	v_or_b32_e32 v3, v11, v3
	s_cbranch_scc1 .LBB3_447
.LBB3_448:                              ;   in Loop: Header=BB3_438 Depth=1
	s_mov_b32 s22, 0
	s_mov_b64 s[4:5], s[6:7]
	s_cbranch_execnz .LBB3_440
.LBB3_449:                              ;   in Loop: Header=BB3_438 Depth=1
	global_load_dwordx2 v[2:3], v7, s[6:7]
	s_add_i32 s22, s16, -8
	s_add_u32 s4, s6, 8
	s_addc_u32 s5, s7, 0
	s_cmp_gt_u32 s22, 7
	s_cbranch_scc0 .LBB3_441
.LBB3_450:                              ;   in Loop: Header=BB3_438 Depth=1
                                        ; implicit-def: $vgpr10_vgpr11
                                        ; implicit-def: $sgpr23
.LBB3_451:                              ;   in Loop: Header=BB3_438 Depth=1
	global_load_dwordx2 v[10:11], v7, s[4:5]
	s_add_i32 s23, s22, -8
	s_add_u32 s4, s4, 8
	s_addc_u32 s5, s5, 0
.LBB3_452:                              ;   in Loop: Header=BB3_438 Depth=1
	s_cmp_gt_u32 s23, 7
	s_cbranch_scc1 .LBB3_457
; %bb.453:                              ;   in Loop: Header=BB3_438 Depth=1
	v_mov_b32_e32 v12, 0
	v_mov_b32_e32 v13, 0
	s_cmp_eq_u32 s23, 0
	s_cbranch_scc1 .LBB3_456
; %bb.454:                              ;   in Loop: Header=BB3_438 Depth=1
	s_mov_b64 s[18:19], 0
	s_mov_b64 s[20:21], 0
.LBB3_455:                              ;   Parent Loop BB3_438 Depth=1
                                        ; =>  This Inner Loop Header: Depth=2
	s_add_u32 s24, s4, s20
	s_addc_u32 s25, s5, s21
	s_add_u32 s20, s20, 1
	global_load_ubyte v6, v7, s[24:25]
	s_addc_u32 s21, s21, 0
	s_waitcnt vmcnt(0)
	v_and_b32_e32 v6, 0xffff, v6
	v_lshlrev_b64 v[14:15], s18, v[6:7]
	s_add_u32 s18, s18, 8
	s_addc_u32 s19, s19, 0
	s_cmp_lg_u32 s23, s20
	v_or_b32_e32 v12, v14, v12
	v_or_b32_e32 v13, v15, v13
	s_cbranch_scc1 .LBB3_455
.LBB3_456:                              ;   in Loop: Header=BB3_438 Depth=1
	s_mov_b32 s22, 0
	s_cbranch_execz .LBB3_458
	s_branch .LBB3_459
.LBB3_457:                              ;   in Loop: Header=BB3_438 Depth=1
                                        ; implicit-def: $sgpr22
.LBB3_458:                              ;   in Loop: Header=BB3_438 Depth=1
	global_load_dwordx2 v[12:13], v7, s[4:5]
	s_add_i32 s22, s23, -8
	s_add_u32 s4, s4, 8
	s_addc_u32 s5, s5, 0
.LBB3_459:                              ;   in Loop: Header=BB3_438 Depth=1
	s_cmp_gt_u32 s22, 7
	s_cbranch_scc1 .LBB3_464
; %bb.460:                              ;   in Loop: Header=BB3_438 Depth=1
	v_mov_b32_e32 v14, 0
	v_mov_b32_e32 v15, 0
	s_cmp_eq_u32 s22, 0
	s_cbranch_scc1 .LBB3_463
; %bb.461:                              ;   in Loop: Header=BB3_438 Depth=1
	s_mov_b64 s[18:19], 0
	s_mov_b64 s[20:21], 0
.LBB3_462:                              ;   Parent Loop BB3_438 Depth=1
                                        ; =>  This Inner Loop Header: Depth=2
	s_add_u32 s24, s4, s20
	s_addc_u32 s25, s5, s21
	s_add_u32 s20, s20, 1
	global_load_ubyte v6, v7, s[24:25]
	s_addc_u32 s21, s21, 0
	s_waitcnt vmcnt(0)
	v_and_b32_e32 v6, 0xffff, v6
	v_lshlrev_b64 v[16:17], s18, v[6:7]
	s_add_u32 s18, s18, 8
	s_addc_u32 s19, s19, 0
	s_cmp_lg_u32 s22, s20
	v_or_b32_e32 v14, v16, v14
	v_or_b32_e32 v15, v17, v15
	s_cbranch_scc1 .LBB3_462
.LBB3_463:                              ;   in Loop: Header=BB3_438 Depth=1
	s_mov_b32 s23, 0
	s_cbranch_execz .LBB3_465
	s_branch .LBB3_466
.LBB3_464:                              ;   in Loop: Header=BB3_438 Depth=1
                                        ; implicit-def: $vgpr14_vgpr15
                                        ; implicit-def: $sgpr23
.LBB3_465:                              ;   in Loop: Header=BB3_438 Depth=1
	global_load_dwordx2 v[14:15], v7, s[4:5]
	s_add_i32 s23, s22, -8
	s_add_u32 s4, s4, 8
	s_addc_u32 s5, s5, 0
.LBB3_466:                              ;   in Loop: Header=BB3_438 Depth=1
	s_cmp_gt_u32 s23, 7
	s_cbranch_scc1 .LBB3_471
; %bb.467:                              ;   in Loop: Header=BB3_438 Depth=1
	v_mov_b32_e32 v16, 0
	v_mov_b32_e32 v17, 0
	s_cmp_eq_u32 s23, 0
	s_cbranch_scc1 .LBB3_470
; %bb.468:                              ;   in Loop: Header=BB3_438 Depth=1
	s_mov_b64 s[18:19], 0
	s_mov_b64 s[20:21], 0
.LBB3_469:                              ;   Parent Loop BB3_438 Depth=1
                                        ; =>  This Inner Loop Header: Depth=2
	s_add_u32 s24, s4, s20
	s_addc_u32 s25, s5, s21
	s_add_u32 s20, s20, 1
	global_load_ubyte v6, v7, s[24:25]
	s_addc_u32 s21, s21, 0
	s_waitcnt vmcnt(0)
	v_and_b32_e32 v6, 0xffff, v6
	v_lshlrev_b64 v[18:19], s18, v[6:7]
	s_add_u32 s18, s18, 8
	s_addc_u32 s19, s19, 0
	s_cmp_lg_u32 s23, s20
	v_or_b32_e32 v16, v18, v16
	v_or_b32_e32 v17, v19, v17
	s_cbranch_scc1 .LBB3_469
.LBB3_470:                              ;   in Loop: Header=BB3_438 Depth=1
	s_mov_b32 s22, 0
	s_cbranch_execz .LBB3_472
	s_branch .LBB3_473
.LBB3_471:                              ;   in Loop: Header=BB3_438 Depth=1
                                        ; implicit-def: $sgpr22
.LBB3_472:                              ;   in Loop: Header=BB3_438 Depth=1
	global_load_dwordx2 v[16:17], v7, s[4:5]
	s_add_i32 s22, s23, -8
	s_add_u32 s4, s4, 8
	s_addc_u32 s5, s5, 0
.LBB3_473:                              ;   in Loop: Header=BB3_438 Depth=1
	s_cmp_gt_u32 s22, 7
	s_cbranch_scc1 .LBB3_478
; %bb.474:                              ;   in Loop: Header=BB3_438 Depth=1
	v_mov_b32_e32 v18, 0
	v_mov_b32_e32 v19, 0
	s_cmp_eq_u32 s22, 0
	s_cbranch_scc1 .LBB3_477
; %bb.475:                              ;   in Loop: Header=BB3_438 Depth=1
	s_mov_b64 s[18:19], 0
	s_mov_b64 s[20:21], 0
.LBB3_476:                              ;   Parent Loop BB3_438 Depth=1
                                        ; =>  This Inner Loop Header: Depth=2
	s_add_u32 s24, s4, s20
	s_addc_u32 s25, s5, s21
	s_add_u32 s20, s20, 1
	global_load_ubyte v6, v7, s[24:25]
	s_addc_u32 s21, s21, 0
	s_waitcnt vmcnt(0)
	v_and_b32_e32 v6, 0xffff, v6
	v_lshlrev_b64 v[20:21], s18, v[6:7]
	s_add_u32 s18, s18, 8
	s_addc_u32 s19, s19, 0
	s_cmp_lg_u32 s22, s20
	v_or_b32_e32 v18, v20, v18
	v_or_b32_e32 v19, v21, v19
	s_cbranch_scc1 .LBB3_476
.LBB3_477:                              ;   in Loop: Header=BB3_438 Depth=1
	s_mov_b32 s23, 0
	s_cbranch_execz .LBB3_479
	s_branch .LBB3_480
.LBB3_478:                              ;   in Loop: Header=BB3_438 Depth=1
                                        ; implicit-def: $vgpr18_vgpr19
                                        ; implicit-def: $sgpr23
.LBB3_479:                              ;   in Loop: Header=BB3_438 Depth=1
	global_load_dwordx2 v[18:19], v7, s[4:5]
	s_add_i32 s23, s22, -8
	s_add_u32 s4, s4, 8
	s_addc_u32 s5, s5, 0
.LBB3_480:                              ;   in Loop: Header=BB3_438 Depth=1
	s_cmp_gt_u32 s23, 7
	s_cbranch_scc1 .LBB3_485
; %bb.481:                              ;   in Loop: Header=BB3_438 Depth=1
	v_mov_b32_e32 v20, 0
	v_mov_b32_e32 v21, 0
	s_cmp_eq_u32 s23, 0
	s_cbranch_scc1 .LBB3_484
; %bb.482:                              ;   in Loop: Header=BB3_438 Depth=1
	s_mov_b64 s[18:19], 0
	s_mov_b64 s[20:21], s[4:5]
.LBB3_483:                              ;   Parent Loop BB3_438 Depth=1
                                        ; =>  This Inner Loop Header: Depth=2
	global_load_ubyte v6, v7, s[20:21]
	s_add_i32 s23, s23, -1
	s_waitcnt vmcnt(0)
	v_and_b32_e32 v6, 0xffff, v6
	v_lshlrev_b64 v[22:23], s18, v[6:7]
	s_add_u32 s18, s18, 8
	s_addc_u32 s19, s19, 0
	s_add_u32 s20, s20, 1
	s_addc_u32 s21, s21, 0
	s_cmp_lg_u32 s23, 0
	v_or_b32_e32 v20, v22, v20
	v_or_b32_e32 v21, v23, v21
	s_cbranch_scc1 .LBB3_483
.LBB3_484:                              ;   in Loop: Header=BB3_438 Depth=1
	s_cbranch_execz .LBB3_486
	s_branch .LBB3_487
.LBB3_485:                              ;   in Loop: Header=BB3_438 Depth=1
.LBB3_486:                              ;   in Loop: Header=BB3_438 Depth=1
	global_load_dwordx2 v[20:21], v7, s[4:5]
.LBB3_487:                              ;   in Loop: Header=BB3_438 Depth=1
	v_readfirstlane_b32 s4, v50
	v_mov_b32_e32 v26, 0
	v_mov_b32_e32 v27, 0
	v_cmp_eq_u32_e64 s4, s4, v50
	s_and_saveexec_b32 s5, s4
	s_cbranch_execz .LBB3_493
; %bb.488:                              ;   in Loop: Header=BB3_438 Depth=1
	global_load_dwordx2 v[24:25], v7, s[26:27] offset:24 glc dlc
	s_waitcnt vmcnt(0)
	buffer_gl1_inv
	buffer_gl0_inv
	s_clause 0x1
	global_load_dwordx2 v[22:23], v7, s[26:27] offset:40
	global_load_dwordx2 v[26:27], v7, s[26:27]
	s_mov_b32 s18, exec_lo
	s_waitcnt vmcnt(1)
	v_and_b32_e32 v6, v23, v25
	v_and_b32_e32 v22, v22, v24
	v_mul_lo_u32 v6, v6, 24
	v_mul_hi_u32 v23, v22, 24
	v_mul_lo_u32 v22, v22, 24
	v_add_nc_u32_e32 v6, v23, v6
	s_waitcnt vmcnt(0)
	v_add_co_u32 v22, vcc_lo, v26, v22
	v_add_co_ci_u32_e32 v23, vcc_lo, v27, v6, vcc_lo
	global_load_dwordx2 v[22:23], v[22:23], off glc dlc
	s_waitcnt vmcnt(0)
	global_atomic_cmpswap_x2 v[26:27], v7, v[22:25], s[26:27] offset:24 glc
	s_waitcnt vmcnt(0)
	buffer_gl1_inv
	buffer_gl0_inv
	v_cmpx_ne_u64_e64 v[26:27], v[24:25]
	s_cbranch_execz .LBB3_492
; %bb.489:                              ;   in Loop: Header=BB3_438 Depth=1
	s_mov_b32 s19, 0
	.p2align	6
.LBB3_490:                              ;   Parent Loop BB3_438 Depth=1
                                        ; =>  This Inner Loop Header: Depth=2
	s_sleep 1
	s_clause 0x1
	global_load_dwordx2 v[22:23], v7, s[26:27] offset:40
	global_load_dwordx2 v[29:30], v7, s[26:27]
	v_mov_b32_e32 v24, v26
	v_mov_b32_e32 v25, v27
	s_waitcnt vmcnt(1)
	v_and_b32_e32 v6, v22, v24
	v_and_b32_e32 v22, v23, v25
	s_waitcnt vmcnt(0)
	v_mad_u64_u32 v[26:27], null, v6, 24, v[29:30]
	v_mov_b32_e32 v6, v27
	v_mad_u64_u32 v[22:23], null, v22, 24, v[6:7]
	v_mov_b32_e32 v27, v22
	global_load_dwordx2 v[22:23], v[26:27], off glc dlc
	s_waitcnt vmcnt(0)
	global_atomic_cmpswap_x2 v[26:27], v7, v[22:25], s[26:27] offset:24 glc
	s_waitcnt vmcnt(0)
	buffer_gl1_inv
	buffer_gl0_inv
	v_cmp_eq_u64_e32 vcc_lo, v[26:27], v[24:25]
	s_or_b32 s19, vcc_lo, s19
	s_andn2_b32 exec_lo, exec_lo, s19
	s_cbranch_execnz .LBB3_490
; %bb.491:                              ;   in Loop: Header=BB3_438 Depth=1
	s_or_b32 exec_lo, exec_lo, s19
.LBB3_492:                              ;   in Loop: Header=BB3_438 Depth=1
	s_or_b32 exec_lo, exec_lo, s18
.LBB3_493:                              ;   in Loop: Header=BB3_438 Depth=1
	s_or_b32 exec_lo, exec_lo, s5
	s_clause 0x1
	global_load_dwordx2 v[29:30], v7, s[26:27] offset:40
	global_load_dwordx4 v[22:25], v7, s[26:27]
	v_readfirstlane_b32 s18, v26
	v_readfirstlane_b32 s19, v27
	s_mov_b32 s5, exec_lo
	s_waitcnt vmcnt(1)
	v_readfirstlane_b32 s20, v29
	v_readfirstlane_b32 s21, v30
	s_and_b64 s[20:21], s[18:19], s[20:21]
	s_mul_i32 s22, s21, 24
	s_mul_hi_u32 s23, s20, 24
	s_mul_i32 s24, s20, 24
	s_add_i32 s23, s23, s22
	s_waitcnt vmcnt(0)
	v_add_co_u32 v26, vcc_lo, v22, s24
	v_add_co_ci_u32_e32 v27, vcc_lo, s23, v23, vcc_lo
	s_and_saveexec_b32 s22, s4
	s_cbranch_execz .LBB3_495
; %bb.494:                              ;   in Loop: Header=BB3_438 Depth=1
	v_mov_b32_e32 v6, s5
	global_store_dwordx4 v[26:27], v[6:9], off offset:8
.LBB3_495:                              ;   in Loop: Header=BB3_438 Depth=1
	s_or_b32 exec_lo, exec_lo, s22
	s_lshl_b64 s[20:21], s[20:21], 12
	v_cmp_gt_u64_e64 vcc_lo, s[10:11], 56
	v_or_b32_e32 v29, v0, v28
	v_add_co_u32 v24, s5, v24, s20
	v_add_co_ci_u32_e64 v25, s5, s21, v25, s5
	s_lshl_b32 s5, s16, 2
	v_or_b32_e32 v6, 0, v1
	v_cndmask_b32_e32 v0, v29, v0, vcc_lo
	s_add_i32 s5, s5, 28
	v_readfirstlane_b32 s20, v24
	s_and_b32 s5, s5, 0x1e0
	v_cndmask_b32_e32 v1, v6, v1, vcc_lo
	v_readfirstlane_b32 s21, v25
	v_and_or_b32 v0, 0xffffff1f, v0, s5
	global_store_dwordx4 v39, v[0:3], s[20:21]
	global_store_dwordx4 v39, v[10:13], s[20:21] offset:16
	global_store_dwordx4 v39, v[14:17], s[20:21] offset:32
	;; [unrolled: 1-line block ×3, first 2 shown]
	s_and_saveexec_b32 s5, s4
	s_cbranch_execz .LBB3_503
; %bb.496:                              ;   in Loop: Header=BB3_438 Depth=1
	s_clause 0x1
	global_load_dwordx2 v[14:15], v7, s[26:27] offset:32 glc dlc
	global_load_dwordx2 v[0:1], v7, s[26:27] offset:40
	v_mov_b32_e32 v12, s18
	v_mov_b32_e32 v13, s19
	s_waitcnt vmcnt(0)
	v_readfirstlane_b32 s20, v0
	v_readfirstlane_b32 s21, v1
	s_and_b64 s[20:21], s[20:21], s[18:19]
	s_mul_i32 s21, s21, 24
	s_mul_hi_u32 s22, s20, 24
	s_mul_i32 s20, s20, 24
	s_add_i32 s22, s22, s21
	v_add_co_u32 v10, vcc_lo, v22, s20
	v_add_co_ci_u32_e32 v11, vcc_lo, s22, v23, vcc_lo
	s_mov_b32 s20, exec_lo
	global_store_dwordx2 v[10:11], v[14:15], off
	s_waitcnt_vscnt null, 0x0
	global_atomic_cmpswap_x2 v[2:3], v7, v[12:15], s[26:27] offset:32 glc
	s_waitcnt vmcnt(0)
	v_cmpx_ne_u64_e64 v[2:3], v[14:15]
	s_cbranch_execz .LBB3_499
; %bb.497:                              ;   in Loop: Header=BB3_438 Depth=1
	s_mov_b32 s21, 0
.LBB3_498:                              ;   Parent Loop BB3_438 Depth=1
                                        ; =>  This Inner Loop Header: Depth=2
	v_mov_b32_e32 v0, s18
	v_mov_b32_e32 v1, s19
	s_sleep 1
	global_store_dwordx2 v[10:11], v[2:3], off
	s_waitcnt_vscnt null, 0x0
	global_atomic_cmpswap_x2 v[0:1], v7, v[0:3], s[26:27] offset:32 glc
	s_waitcnt vmcnt(0)
	v_cmp_eq_u64_e32 vcc_lo, v[0:1], v[2:3]
	v_mov_b32_e32 v3, v1
	v_mov_b32_e32 v2, v0
	s_or_b32 s21, vcc_lo, s21
	s_andn2_b32 exec_lo, exec_lo, s21
	s_cbranch_execnz .LBB3_498
.LBB3_499:                              ;   in Loop: Header=BB3_438 Depth=1
	s_or_b32 exec_lo, exec_lo, s20
	global_load_dwordx2 v[0:1], v7, s[26:27] offset:16
	s_mov_b32 s21, exec_lo
	s_mov_b32 s20, exec_lo
	v_mbcnt_lo_u32_b32 v2, s21, 0
	v_cmpx_eq_u32_e32 0, v2
	s_cbranch_execz .LBB3_501
; %bb.500:                              ;   in Loop: Header=BB3_438 Depth=1
	s_bcnt1_i32_b32 s21, s21
	v_mov_b32_e32 v6, s21
	s_waitcnt vmcnt(0)
	global_atomic_add_x2 v[0:1], v[6:7], off offset:8
.LBB3_501:                              ;   in Loop: Header=BB3_438 Depth=1
	s_or_b32 exec_lo, exec_lo, s20
	s_waitcnt vmcnt(0)
	global_load_dwordx2 v[2:3], v[0:1], off offset:16
	s_waitcnt vmcnt(0)
	v_cmp_eq_u64_e32 vcc_lo, 0, v[2:3]
	s_cbranch_vccnz .LBB3_503
; %bb.502:                              ;   in Loop: Header=BB3_438 Depth=1
	global_load_dword v6, v[0:1], off offset:24
	s_waitcnt vmcnt(0)
	v_and_b32_e32 v0, 0x7fffff, v6
	s_waitcnt_vscnt null, 0x0
	global_store_dwordx2 v[2:3], v[6:7], off
	v_readfirstlane_b32 m0, v0
	s_sendmsg sendmsg(MSG_INTERRUPT)
.LBB3_503:                              ;   in Loop: Header=BB3_438 Depth=1
	s_or_b32 exec_lo, exec_lo, s5
	v_add_co_u32 v0, vcc_lo, v24, v39
	v_add_co_ci_u32_e32 v1, vcc_lo, 0, v25, vcc_lo
	s_branch .LBB3_507
	.p2align	6
.LBB3_504:                              ;   in Loop: Header=BB3_507 Depth=2
	s_or_b32 exec_lo, exec_lo, s5
	v_readfirstlane_b32 s5, v2
	s_cmp_eq_u32 s5, 0
	s_cbranch_scc1 .LBB3_506
; %bb.505:                              ;   in Loop: Header=BB3_507 Depth=2
	s_sleep 1
	s_cbranch_execnz .LBB3_507
	s_branch .LBB3_509
	.p2align	6
.LBB3_506:                              ;   in Loop: Header=BB3_438 Depth=1
	s_branch .LBB3_509
.LBB3_507:                              ;   Parent Loop BB3_438 Depth=1
                                        ; =>  This Inner Loop Header: Depth=2
	v_mov_b32_e32 v2, 1
	s_and_saveexec_b32 s5, s4
	s_cbranch_execz .LBB3_504
; %bb.508:                              ;   in Loop: Header=BB3_507 Depth=2
	global_load_dword v2, v[26:27], off offset:20 glc dlc
	s_waitcnt vmcnt(0)
	buffer_gl1_inv
	buffer_gl0_inv
	v_and_b32_e32 v2, 1, v2
	s_branch .LBB3_504
.LBB3_509:                              ;   in Loop: Header=BB3_438 Depth=1
	global_load_dwordx4 v[0:3], v[0:1], off
	s_and_saveexec_b32 s5, s4
	s_cbranch_execz .LBB3_437
; %bb.510:                              ;   in Loop: Header=BB3_438 Depth=1
	s_clause 0x2
	global_load_dwordx2 v[2:3], v7, s[26:27] offset:40
	global_load_dwordx2 v[14:15], v7, s[26:27] offset:24 glc dlc
	global_load_dwordx2 v[12:13], v7, s[26:27]
	s_waitcnt vmcnt(2)
	v_add_co_u32 v6, vcc_lo, v2, 1
	v_add_co_ci_u32_e32 v16, vcc_lo, 0, v3, vcc_lo
	v_add_co_u32 v10, vcc_lo, v6, s18
	v_add_co_ci_u32_e32 v11, vcc_lo, s19, v16, vcc_lo
	v_cmp_eq_u64_e32 vcc_lo, 0, v[10:11]
	v_cndmask_b32_e32 v11, v11, v16, vcc_lo
	v_cndmask_b32_e32 v10, v10, v6, vcc_lo
	v_and_b32_e32 v3, v11, v3
	v_and_b32_e32 v2, v10, v2
	v_mul_lo_u32 v3, v3, 24
	v_mul_hi_u32 v6, v2, 24
	v_mul_lo_u32 v2, v2, 24
	v_add_nc_u32_e32 v3, v6, v3
	s_waitcnt vmcnt(0)
	v_add_co_u32 v2, vcc_lo, v12, v2
	v_mov_b32_e32 v12, v14
	v_add_co_ci_u32_e32 v3, vcc_lo, v13, v3, vcc_lo
	v_mov_b32_e32 v13, v15
	global_store_dwordx2 v[2:3], v[14:15], off
	s_waitcnt_vscnt null, 0x0
	global_atomic_cmpswap_x2 v[12:13], v7, v[10:13], s[26:27] offset:24 glc
	s_waitcnt vmcnt(0)
	v_cmp_ne_u64_e32 vcc_lo, v[12:13], v[14:15]
	s_and_b32 exec_lo, exec_lo, vcc_lo
	s_cbranch_execz .LBB3_437
; %bb.511:                              ;   in Loop: Header=BB3_438 Depth=1
	s_mov_b32 s4, 0
.LBB3_512:                              ;   Parent Loop BB3_438 Depth=1
                                        ; =>  This Inner Loop Header: Depth=2
	s_sleep 1
	global_store_dwordx2 v[2:3], v[12:13], off
	s_waitcnt_vscnt null, 0x0
	global_atomic_cmpswap_x2 v[14:15], v7, v[10:13], s[26:27] offset:24 glc
	s_waitcnt vmcnt(0)
	v_cmp_eq_u64_e32 vcc_lo, v[14:15], v[12:13]
	v_mov_b32_e32 v12, v14
	v_mov_b32_e32 v13, v15
	s_or_b32 s4, vcc_lo, s4
	s_andn2_b32 exec_lo, exec_lo, s4
	s_cbranch_execnz .LBB3_512
	s_branch .LBB3_437
.LBB3_513:
	s_branch .LBB3_542
.LBB3_514:
                                        ; implicit-def: $vgpr0_vgpr1
	s_cbranch_execz .LBB3_542
; %bb.515:
	v_readfirstlane_b32 s4, v50
	v_mov_b32_e32 v7, 0
	v_mov_b32_e32 v8, 0
	v_cmp_eq_u32_e64 s4, s4, v50
	s_and_saveexec_b32 s5, s4
	s_cbranch_execz .LBB3_521
; %bb.516:
	s_waitcnt vmcnt(0)
	v_mov_b32_e32 v0, 0
	s_mov_b32 s6, exec_lo
	global_load_dwordx2 v[9:10], v0, s[26:27] offset:24 glc dlc
	s_waitcnt vmcnt(0)
	buffer_gl1_inv
	buffer_gl0_inv
	s_clause 0x1
	global_load_dwordx2 v[1:2], v0, s[26:27] offset:40
	global_load_dwordx2 v[6:7], v0, s[26:27]
	s_waitcnt vmcnt(1)
	v_and_b32_e32 v2, v2, v10
	v_and_b32_e32 v1, v1, v9
	v_mul_lo_u32 v2, v2, 24
	v_mul_hi_u32 v3, v1, 24
	v_mul_lo_u32 v1, v1, 24
	v_add_nc_u32_e32 v2, v3, v2
	s_waitcnt vmcnt(0)
	v_add_co_u32 v1, vcc_lo, v6, v1
	v_add_co_ci_u32_e32 v2, vcc_lo, v7, v2, vcc_lo
	global_load_dwordx2 v[7:8], v[1:2], off glc dlc
	s_waitcnt vmcnt(0)
	global_atomic_cmpswap_x2 v[7:8], v0, v[7:10], s[26:27] offset:24 glc
	s_waitcnt vmcnt(0)
	buffer_gl1_inv
	buffer_gl0_inv
	v_cmpx_ne_u64_e64 v[7:8], v[9:10]
	s_cbranch_execz .LBB3_520
; %bb.517:
	s_mov_b32 s7, 0
	.p2align	6
.LBB3_518:                              ; =>This Inner Loop Header: Depth=1
	s_sleep 1
	s_clause 0x1
	global_load_dwordx2 v[1:2], v0, s[26:27] offset:40
	global_load_dwordx2 v[11:12], v0, s[26:27]
	v_mov_b32_e32 v10, v8
	v_mov_b32_e32 v9, v7
	s_waitcnt vmcnt(1)
	v_and_b32_e32 v1, v1, v9
	v_and_b32_e32 v2, v2, v10
	s_waitcnt vmcnt(0)
	v_mad_u64_u32 v[6:7], null, v1, 24, v[11:12]
	v_mov_b32_e32 v1, v7
	v_mad_u64_u32 v[1:2], null, v2, 24, v[1:2]
	v_mov_b32_e32 v7, v1
	global_load_dwordx2 v[7:8], v[6:7], off glc dlc
	s_waitcnt vmcnt(0)
	global_atomic_cmpswap_x2 v[7:8], v0, v[7:10], s[26:27] offset:24 glc
	s_waitcnt vmcnt(0)
	buffer_gl1_inv
	buffer_gl0_inv
	v_cmp_eq_u64_e32 vcc_lo, v[7:8], v[9:10]
	s_or_b32 s7, vcc_lo, s7
	s_andn2_b32 exec_lo, exec_lo, s7
	s_cbranch_execnz .LBB3_518
; %bb.519:
	s_or_b32 exec_lo, exec_lo, s7
.LBB3_520:
	s_or_b32 exec_lo, exec_lo, s6
.LBB3_521:
	s_or_b32 exec_lo, exec_lo, s5
	v_mov_b32_e32 v6, 0
	v_readfirstlane_b32 s6, v7
	v_readfirstlane_b32 s7, v8
	s_mov_b32 s5, exec_lo
	s_clause 0x1
	global_load_dwordx2 v[9:10], v6, s[26:27] offset:40
	global_load_dwordx4 v[0:3], v6, s[26:27]
	s_waitcnt vmcnt(1)
	v_readfirstlane_b32 s10, v9
	v_readfirstlane_b32 s11, v10
	s_and_b64 s[10:11], s[6:7], s[10:11]
	s_mul_i32 s16, s11, 24
	s_mul_hi_u32 s17, s10, 24
	s_mul_i32 s18, s10, 24
	s_add_i32 s17, s17, s16
	s_waitcnt vmcnt(0)
	v_add_co_u32 v8, vcc_lo, v0, s18
	v_add_co_ci_u32_e32 v9, vcc_lo, s17, v1, vcc_lo
	s_and_saveexec_b32 s16, s4
	s_cbranch_execz .LBB3_523
; %bb.522:
	v_mov_b32_e32 v10, s5
	v_mov_b32_e32 v11, v6
	;; [unrolled: 1-line block ×4, first 2 shown]
	global_store_dwordx4 v[8:9], v[10:13], off offset:8
.LBB3_523:
	s_or_b32 exec_lo, exec_lo, s16
	s_lshl_b64 s[10:11], s[10:11], 12
	s_mov_b32 s16, 0
	v_add_co_u32 v2, vcc_lo, v2, s10
	v_add_co_ci_u32_e32 v3, vcc_lo, s11, v3, vcc_lo
	s_mov_b32 s17, s16
	v_add_co_u32 v10, vcc_lo, v2, v39
	s_mov_b32 s18, s16
	s_mov_b32 s19, s16
	v_and_or_b32 v4, 0xffffff1f, v4, 32
	v_mov_b32_e32 v7, v6
	v_readfirstlane_b32 s10, v2
	v_readfirstlane_b32 s11, v3
	v_mov_b32_e32 v12, s16
	v_add_co_ci_u32_e32 v11, vcc_lo, 0, v3, vcc_lo
	v_mov_b32_e32 v13, s17
	v_mov_b32_e32 v14, s18
	;; [unrolled: 1-line block ×3, first 2 shown]
	global_store_dwordx4 v39, v[4:7], s[10:11]
	global_store_dwordx4 v39, v[12:15], s[10:11] offset:16
	global_store_dwordx4 v39, v[12:15], s[10:11] offset:32
	global_store_dwordx4 v39, v[12:15], s[10:11] offset:48
	s_and_saveexec_b32 s5, s4
	s_cbranch_execz .LBB3_531
; %bb.524:
	v_mov_b32_e32 v6, 0
	v_mov_b32_e32 v12, s6
	;; [unrolled: 1-line block ×3, first 2 shown]
	s_clause 0x1
	global_load_dwordx2 v[14:15], v6, s[26:27] offset:32 glc dlc
	global_load_dwordx2 v[2:3], v6, s[26:27] offset:40
	s_waitcnt vmcnt(0)
	v_readfirstlane_b32 s10, v2
	v_readfirstlane_b32 s11, v3
	s_and_b64 s[10:11], s[10:11], s[6:7]
	s_mul_i32 s11, s11, 24
	s_mul_hi_u32 s16, s10, 24
	s_mul_i32 s10, s10, 24
	s_add_i32 s16, s16, s11
	v_add_co_u32 v4, vcc_lo, v0, s10
	v_add_co_ci_u32_e32 v5, vcc_lo, s16, v1, vcc_lo
	s_mov_b32 s10, exec_lo
	global_store_dwordx2 v[4:5], v[14:15], off
	s_waitcnt_vscnt null, 0x0
	global_atomic_cmpswap_x2 v[2:3], v6, v[12:15], s[26:27] offset:32 glc
	s_waitcnt vmcnt(0)
	v_cmpx_ne_u64_e64 v[2:3], v[14:15]
	s_cbranch_execz .LBB3_527
; %bb.525:
	s_mov_b32 s11, 0
.LBB3_526:                              ; =>This Inner Loop Header: Depth=1
	v_mov_b32_e32 v0, s6
	v_mov_b32_e32 v1, s7
	s_sleep 1
	global_store_dwordx2 v[4:5], v[2:3], off
	s_waitcnt_vscnt null, 0x0
	global_atomic_cmpswap_x2 v[0:1], v6, v[0:3], s[26:27] offset:32 glc
	s_waitcnt vmcnt(0)
	v_cmp_eq_u64_e32 vcc_lo, v[0:1], v[2:3]
	v_mov_b32_e32 v3, v1
	v_mov_b32_e32 v2, v0
	s_or_b32 s11, vcc_lo, s11
	s_andn2_b32 exec_lo, exec_lo, s11
	s_cbranch_execnz .LBB3_526
.LBB3_527:
	s_or_b32 exec_lo, exec_lo, s10
	v_mov_b32_e32 v3, 0
	s_mov_b32 s11, exec_lo
	s_mov_b32 s10, exec_lo
	v_mbcnt_lo_u32_b32 v2, s11, 0
	global_load_dwordx2 v[0:1], v3, s[26:27] offset:16
	v_cmpx_eq_u32_e32 0, v2
	s_cbranch_execz .LBB3_529
; %bb.528:
	s_bcnt1_i32_b32 s11, s11
	v_mov_b32_e32 v2, s11
	s_waitcnt vmcnt(0)
	global_atomic_add_x2 v[0:1], v[2:3], off offset:8
.LBB3_529:
	s_or_b32 exec_lo, exec_lo, s10
	s_waitcnt vmcnt(0)
	global_load_dwordx2 v[2:3], v[0:1], off offset:16
	s_waitcnt vmcnt(0)
	v_cmp_eq_u64_e32 vcc_lo, 0, v[2:3]
	s_cbranch_vccnz .LBB3_531
; %bb.530:
	global_load_dword v0, v[0:1], off offset:24
	v_mov_b32_e32 v1, 0
	s_waitcnt vmcnt(0)
	v_and_b32_e32 v4, 0x7fffff, v0
	s_waitcnt_vscnt null, 0x0
	global_store_dwordx2 v[2:3], v[0:1], off
	v_readfirstlane_b32 m0, v4
	s_sendmsg sendmsg(MSG_INTERRUPT)
.LBB3_531:
	s_or_b32 exec_lo, exec_lo, s5
	s_branch .LBB3_535
	.p2align	6
.LBB3_532:                              ;   in Loop: Header=BB3_535 Depth=1
	s_or_b32 exec_lo, exec_lo, s5
	v_readfirstlane_b32 s5, v0
	s_cmp_eq_u32 s5, 0
	s_cbranch_scc1 .LBB3_534
; %bb.533:                              ;   in Loop: Header=BB3_535 Depth=1
	s_sleep 1
	s_cbranch_execnz .LBB3_535
	s_branch .LBB3_537
	.p2align	6
.LBB3_534:
	s_branch .LBB3_537
.LBB3_535:                              ; =>This Inner Loop Header: Depth=1
	v_mov_b32_e32 v0, 1
	s_and_saveexec_b32 s5, s4
	s_cbranch_execz .LBB3_532
; %bb.536:                              ;   in Loop: Header=BB3_535 Depth=1
	global_load_dword v0, v[8:9], off offset:20 glc dlc
	s_waitcnt vmcnt(0)
	buffer_gl1_inv
	buffer_gl0_inv
	v_and_b32_e32 v0, 1, v0
	s_branch .LBB3_532
.LBB3_537:
	global_load_dwordx2 v[0:1], v[10:11], off
	s_and_saveexec_b32 s5, s4
	s_cbranch_execz .LBB3_541
; %bb.538:
	v_mov_b32_e32 v8, 0
	s_clause 0x2
	global_load_dwordx2 v[4:5], v8, s[26:27] offset:40
	global_load_dwordx2 v[9:10], v8, s[26:27] offset:24 glc dlc
	global_load_dwordx2 v[6:7], v8, s[26:27]
	s_waitcnt vmcnt(2)
	v_add_co_u32 v11, vcc_lo, v4, 1
	v_add_co_ci_u32_e32 v12, vcc_lo, 0, v5, vcc_lo
	v_add_co_u32 v2, vcc_lo, v11, s6
	v_add_co_ci_u32_e32 v3, vcc_lo, s7, v12, vcc_lo
	v_cmp_eq_u64_e32 vcc_lo, 0, v[2:3]
	v_cndmask_b32_e32 v3, v3, v12, vcc_lo
	v_cndmask_b32_e32 v2, v2, v11, vcc_lo
	v_and_b32_e32 v5, v3, v5
	v_and_b32_e32 v4, v2, v4
	v_mul_lo_u32 v5, v5, 24
	v_mul_hi_u32 v11, v4, 24
	v_mul_lo_u32 v4, v4, 24
	v_add_nc_u32_e32 v5, v11, v5
	s_waitcnt vmcnt(0)
	v_add_co_u32 v6, vcc_lo, v6, v4
	v_mov_b32_e32 v4, v9
	v_add_co_ci_u32_e32 v7, vcc_lo, v7, v5, vcc_lo
	v_mov_b32_e32 v5, v10
	global_store_dwordx2 v[6:7], v[9:10], off
	s_waitcnt_vscnt null, 0x0
	global_atomic_cmpswap_x2 v[4:5], v8, v[2:5], s[26:27] offset:24 glc
	s_waitcnt vmcnt(0)
	v_cmp_ne_u64_e32 vcc_lo, v[4:5], v[9:10]
	s_and_b32 exec_lo, exec_lo, vcc_lo
	s_cbranch_execz .LBB3_541
; %bb.539:
	s_mov_b32 s4, 0
.LBB3_540:                              ; =>This Inner Loop Header: Depth=1
	s_sleep 1
	global_store_dwordx2 v[6:7], v[4:5], off
	s_waitcnt_vscnt null, 0x0
	global_atomic_cmpswap_x2 v[9:10], v8, v[2:5], s[26:27] offset:24 glc
	s_waitcnt vmcnt(0)
	v_cmp_eq_u64_e32 vcc_lo, v[9:10], v[4:5]
	v_mov_b32_e32 v4, v9
	v_mov_b32_e32 v5, v10
	s_or_b32 s4, vcc_lo, s4
	s_andn2_b32 exec_lo, exec_lo, s4
	s_cbranch_execnz .LBB3_540
.LBB3_541:
	s_or_b32 exec_lo, exec_lo, s5
.LBB3_542:
	s_getpc_b64 s[6:7]
	s_add_u32 s6, s6, .str.1@rel32@lo+4
	s_addc_u32 s7, s7, .str.1@rel32@hi+12
	s_cmp_lg_u64 s[6:7], 0
	s_cbranch_scc0 .LBB3_621
; %bb.543:
	s_waitcnt vmcnt(0)
	v_and_b32_e32 v6, -3, v0
	v_mov_b32_e32 v7, v1
	v_mov_b32_e32 v3, 0
	;; [unrolled: 1-line block ×4, first 2 shown]
	s_mov_b64 s[10:11], 0x53
	s_branch .LBB3_545
.LBB3_544:                              ;   in Loop: Header=BB3_545 Depth=1
	s_or_b32 exec_lo, exec_lo, s5
	s_sub_u32 s10, s10, s16
	s_subb_u32 s11, s11, s17
	s_add_u32 s6, s6, s16
	s_addc_u32 s7, s7, s17
	s_cmp_lg_u64 s[10:11], 0
	s_cbranch_scc0 .LBB3_620
.LBB3_545:                              ; =>This Loop Header: Depth=1
                                        ;     Child Loop BB3_554 Depth 2
                                        ;     Child Loop BB3_550 Depth 2
	;; [unrolled: 1-line block ×11, first 2 shown]
	v_cmp_lt_u64_e64 s4, s[10:11], 56
	v_cmp_gt_u64_e64 s5, s[10:11], 7
                                        ; implicit-def: $sgpr22
	s_and_b32 s4, s4, exec_lo
	s_cselect_b32 s17, s11, 0
	s_cselect_b32 s16, s10, 56
	s_and_b32 vcc_lo, exec_lo, s5
	s_mov_b32 s4, -1
	s_cbranch_vccz .LBB3_552
; %bb.546:                              ;   in Loop: Header=BB3_545 Depth=1
	s_andn2_b32 vcc_lo, exec_lo, s4
	s_mov_b64 s[4:5], s[6:7]
	s_cbranch_vccz .LBB3_556
.LBB3_547:                              ;   in Loop: Header=BB3_545 Depth=1
	s_cmp_gt_u32 s22, 7
	s_cbranch_scc1 .LBB3_557
.LBB3_548:                              ;   in Loop: Header=BB3_545 Depth=1
	v_mov_b32_e32 v10, 0
	v_mov_b32_e32 v11, 0
	s_cmp_eq_u32 s22, 0
	s_cbranch_scc1 .LBB3_551
; %bb.549:                              ;   in Loop: Header=BB3_545 Depth=1
	s_mov_b64 s[18:19], 0
	s_mov_b64 s[20:21], 0
.LBB3_550:                              ;   Parent Loop BB3_545 Depth=1
                                        ; =>  This Inner Loop Header: Depth=2
	s_add_u32 s24, s4, s20
	s_addc_u32 s25, s5, s21
	s_add_u32 s20, s20, 1
	global_load_ubyte v2, v3, s[24:25]
	s_addc_u32 s21, s21, 0
	s_waitcnt vmcnt(0)
	v_and_b32_e32 v2, 0xffff, v2
	v_lshlrev_b64 v[12:13], s18, v[2:3]
	s_add_u32 s18, s18, 8
	s_addc_u32 s19, s19, 0
	s_cmp_lg_u32 s22, s20
	v_or_b32_e32 v10, v12, v10
	v_or_b32_e32 v11, v13, v11
	s_cbranch_scc1 .LBB3_550
.LBB3_551:                              ;   in Loop: Header=BB3_545 Depth=1
	s_mov_b32 s23, 0
	s_cbranch_execz .LBB3_558
	s_branch .LBB3_559
.LBB3_552:                              ;   in Loop: Header=BB3_545 Depth=1
	s_waitcnt vmcnt(0)
	v_mov_b32_e32 v8, 0
	v_mov_b32_e32 v9, 0
	s_cmp_eq_u64 s[10:11], 0
	s_mov_b64 s[4:5], 0
	s_cbranch_scc1 .LBB3_555
; %bb.553:                              ;   in Loop: Header=BB3_545 Depth=1
	v_mov_b32_e32 v8, 0
	v_mov_b32_e32 v9, 0
	s_lshl_b64 s[18:19], s[16:17], 3
	s_mov_b64 s[20:21], s[6:7]
.LBB3_554:                              ;   Parent Loop BB3_545 Depth=1
                                        ; =>  This Inner Loop Header: Depth=2
	global_load_ubyte v2, v3, s[20:21]
	s_waitcnt vmcnt(0)
	v_and_b32_e32 v2, 0xffff, v2
	v_lshlrev_b64 v[10:11], s4, v[2:3]
	s_add_u32 s4, s4, 8
	s_addc_u32 s5, s5, 0
	s_add_u32 s20, s20, 1
	s_addc_u32 s21, s21, 0
	s_cmp_lg_u32 s18, s4
	v_or_b32_e32 v8, v10, v8
	v_or_b32_e32 v9, v11, v9
	s_cbranch_scc1 .LBB3_554
.LBB3_555:                              ;   in Loop: Header=BB3_545 Depth=1
	s_mov_b32 s22, 0
	s_mov_b64 s[4:5], s[6:7]
	s_cbranch_execnz .LBB3_547
.LBB3_556:                              ;   in Loop: Header=BB3_545 Depth=1
	global_load_dwordx2 v[8:9], v3, s[6:7]
	s_add_i32 s22, s16, -8
	s_add_u32 s4, s6, 8
	s_addc_u32 s5, s7, 0
	s_cmp_gt_u32 s22, 7
	s_cbranch_scc0 .LBB3_548
.LBB3_557:                              ;   in Loop: Header=BB3_545 Depth=1
                                        ; implicit-def: $vgpr10_vgpr11
                                        ; implicit-def: $sgpr23
.LBB3_558:                              ;   in Loop: Header=BB3_545 Depth=1
	global_load_dwordx2 v[10:11], v3, s[4:5]
	s_add_i32 s23, s22, -8
	s_add_u32 s4, s4, 8
	s_addc_u32 s5, s5, 0
.LBB3_559:                              ;   in Loop: Header=BB3_545 Depth=1
	s_cmp_gt_u32 s23, 7
	s_cbranch_scc1 .LBB3_564
; %bb.560:                              ;   in Loop: Header=BB3_545 Depth=1
	v_mov_b32_e32 v12, 0
	v_mov_b32_e32 v13, 0
	s_cmp_eq_u32 s23, 0
	s_cbranch_scc1 .LBB3_563
; %bb.561:                              ;   in Loop: Header=BB3_545 Depth=1
	s_mov_b64 s[18:19], 0
	s_mov_b64 s[20:21], 0
.LBB3_562:                              ;   Parent Loop BB3_545 Depth=1
                                        ; =>  This Inner Loop Header: Depth=2
	s_add_u32 s24, s4, s20
	s_addc_u32 s25, s5, s21
	s_add_u32 s20, s20, 1
	global_load_ubyte v2, v3, s[24:25]
	s_addc_u32 s21, s21, 0
	s_waitcnt vmcnt(0)
	v_and_b32_e32 v2, 0xffff, v2
	v_lshlrev_b64 v[14:15], s18, v[2:3]
	s_add_u32 s18, s18, 8
	s_addc_u32 s19, s19, 0
	s_cmp_lg_u32 s23, s20
	v_or_b32_e32 v12, v14, v12
	v_or_b32_e32 v13, v15, v13
	s_cbranch_scc1 .LBB3_562
.LBB3_563:                              ;   in Loop: Header=BB3_545 Depth=1
	s_mov_b32 s22, 0
	s_cbranch_execz .LBB3_565
	s_branch .LBB3_566
.LBB3_564:                              ;   in Loop: Header=BB3_545 Depth=1
                                        ; implicit-def: $sgpr22
.LBB3_565:                              ;   in Loop: Header=BB3_545 Depth=1
	global_load_dwordx2 v[12:13], v3, s[4:5]
	s_add_i32 s22, s23, -8
	s_add_u32 s4, s4, 8
	s_addc_u32 s5, s5, 0
.LBB3_566:                              ;   in Loop: Header=BB3_545 Depth=1
	s_cmp_gt_u32 s22, 7
	s_cbranch_scc1 .LBB3_571
; %bb.567:                              ;   in Loop: Header=BB3_545 Depth=1
	v_mov_b32_e32 v14, 0
	v_mov_b32_e32 v15, 0
	s_cmp_eq_u32 s22, 0
	s_cbranch_scc1 .LBB3_570
; %bb.568:                              ;   in Loop: Header=BB3_545 Depth=1
	s_mov_b64 s[18:19], 0
	s_mov_b64 s[20:21], 0
.LBB3_569:                              ;   Parent Loop BB3_545 Depth=1
                                        ; =>  This Inner Loop Header: Depth=2
	s_add_u32 s24, s4, s20
	s_addc_u32 s25, s5, s21
	s_add_u32 s20, s20, 1
	global_load_ubyte v2, v3, s[24:25]
	s_addc_u32 s21, s21, 0
	s_waitcnt vmcnt(0)
	v_and_b32_e32 v2, 0xffff, v2
	v_lshlrev_b64 v[16:17], s18, v[2:3]
	s_add_u32 s18, s18, 8
	s_addc_u32 s19, s19, 0
	s_cmp_lg_u32 s22, s20
	v_or_b32_e32 v14, v16, v14
	v_or_b32_e32 v15, v17, v15
	s_cbranch_scc1 .LBB3_569
.LBB3_570:                              ;   in Loop: Header=BB3_545 Depth=1
	s_mov_b32 s23, 0
	s_cbranch_execz .LBB3_572
	s_branch .LBB3_573
.LBB3_571:                              ;   in Loop: Header=BB3_545 Depth=1
                                        ; implicit-def: $vgpr14_vgpr15
                                        ; implicit-def: $sgpr23
.LBB3_572:                              ;   in Loop: Header=BB3_545 Depth=1
	global_load_dwordx2 v[14:15], v3, s[4:5]
	s_add_i32 s23, s22, -8
	s_add_u32 s4, s4, 8
	s_addc_u32 s5, s5, 0
.LBB3_573:                              ;   in Loop: Header=BB3_545 Depth=1
	s_cmp_gt_u32 s23, 7
	s_cbranch_scc1 .LBB3_578
; %bb.574:                              ;   in Loop: Header=BB3_545 Depth=1
	v_mov_b32_e32 v16, 0
	v_mov_b32_e32 v17, 0
	s_cmp_eq_u32 s23, 0
	s_cbranch_scc1 .LBB3_577
; %bb.575:                              ;   in Loop: Header=BB3_545 Depth=1
	s_mov_b64 s[18:19], 0
	s_mov_b64 s[20:21], 0
.LBB3_576:                              ;   Parent Loop BB3_545 Depth=1
                                        ; =>  This Inner Loop Header: Depth=2
	s_add_u32 s24, s4, s20
	s_addc_u32 s25, s5, s21
	s_add_u32 s20, s20, 1
	global_load_ubyte v2, v3, s[24:25]
	s_addc_u32 s21, s21, 0
	s_waitcnt vmcnt(0)
	v_and_b32_e32 v2, 0xffff, v2
	v_lshlrev_b64 v[18:19], s18, v[2:3]
	s_add_u32 s18, s18, 8
	s_addc_u32 s19, s19, 0
	s_cmp_lg_u32 s23, s20
	v_or_b32_e32 v16, v18, v16
	v_or_b32_e32 v17, v19, v17
	s_cbranch_scc1 .LBB3_576
.LBB3_577:                              ;   in Loop: Header=BB3_545 Depth=1
	s_mov_b32 s22, 0
	s_cbranch_execz .LBB3_579
	s_branch .LBB3_580
.LBB3_578:                              ;   in Loop: Header=BB3_545 Depth=1
                                        ; implicit-def: $sgpr22
.LBB3_579:                              ;   in Loop: Header=BB3_545 Depth=1
	global_load_dwordx2 v[16:17], v3, s[4:5]
	s_add_i32 s22, s23, -8
	s_add_u32 s4, s4, 8
	s_addc_u32 s5, s5, 0
.LBB3_580:                              ;   in Loop: Header=BB3_545 Depth=1
	s_cmp_gt_u32 s22, 7
	s_cbranch_scc1 .LBB3_585
; %bb.581:                              ;   in Loop: Header=BB3_545 Depth=1
	v_mov_b32_e32 v18, 0
	v_mov_b32_e32 v19, 0
	s_cmp_eq_u32 s22, 0
	s_cbranch_scc1 .LBB3_584
; %bb.582:                              ;   in Loop: Header=BB3_545 Depth=1
	s_mov_b64 s[18:19], 0
	s_mov_b64 s[20:21], 0
.LBB3_583:                              ;   Parent Loop BB3_545 Depth=1
                                        ; =>  This Inner Loop Header: Depth=2
	s_add_u32 s24, s4, s20
	s_addc_u32 s25, s5, s21
	s_add_u32 s20, s20, 1
	global_load_ubyte v2, v3, s[24:25]
	s_addc_u32 s21, s21, 0
	s_waitcnt vmcnt(0)
	v_and_b32_e32 v2, 0xffff, v2
	v_lshlrev_b64 v[20:21], s18, v[2:3]
	s_add_u32 s18, s18, 8
	s_addc_u32 s19, s19, 0
	s_cmp_lg_u32 s22, s20
	v_or_b32_e32 v18, v20, v18
	v_or_b32_e32 v19, v21, v19
	s_cbranch_scc1 .LBB3_583
.LBB3_584:                              ;   in Loop: Header=BB3_545 Depth=1
	s_mov_b32 s23, 0
	s_cbranch_execz .LBB3_586
	s_branch .LBB3_587
.LBB3_585:                              ;   in Loop: Header=BB3_545 Depth=1
                                        ; implicit-def: $vgpr18_vgpr19
                                        ; implicit-def: $sgpr23
.LBB3_586:                              ;   in Loop: Header=BB3_545 Depth=1
	global_load_dwordx2 v[18:19], v3, s[4:5]
	s_add_i32 s23, s22, -8
	s_add_u32 s4, s4, 8
	s_addc_u32 s5, s5, 0
.LBB3_587:                              ;   in Loop: Header=BB3_545 Depth=1
	s_cmp_gt_u32 s23, 7
	s_cbranch_scc1 .LBB3_592
; %bb.588:                              ;   in Loop: Header=BB3_545 Depth=1
	v_mov_b32_e32 v20, 0
	v_mov_b32_e32 v21, 0
	s_cmp_eq_u32 s23, 0
	s_cbranch_scc1 .LBB3_591
; %bb.589:                              ;   in Loop: Header=BB3_545 Depth=1
	s_mov_b64 s[18:19], 0
	s_mov_b64 s[20:21], s[4:5]
.LBB3_590:                              ;   Parent Loop BB3_545 Depth=1
                                        ; =>  This Inner Loop Header: Depth=2
	global_load_ubyte v2, v3, s[20:21]
	s_add_i32 s23, s23, -1
	s_waitcnt vmcnt(0)
	v_and_b32_e32 v2, 0xffff, v2
	v_lshlrev_b64 v[22:23], s18, v[2:3]
	s_add_u32 s18, s18, 8
	s_addc_u32 s19, s19, 0
	s_add_u32 s20, s20, 1
	s_addc_u32 s21, s21, 0
	s_cmp_lg_u32 s23, 0
	v_or_b32_e32 v20, v22, v20
	v_or_b32_e32 v21, v23, v21
	s_cbranch_scc1 .LBB3_590
.LBB3_591:                              ;   in Loop: Header=BB3_545 Depth=1
	s_cbranch_execz .LBB3_593
	s_branch .LBB3_594
.LBB3_592:                              ;   in Loop: Header=BB3_545 Depth=1
.LBB3_593:                              ;   in Loop: Header=BB3_545 Depth=1
	global_load_dwordx2 v[20:21], v3, s[4:5]
.LBB3_594:                              ;   in Loop: Header=BB3_545 Depth=1
	v_readfirstlane_b32 s4, v50
	v_mov_b32_e32 v26, 0
	v_mov_b32_e32 v27, 0
	v_cmp_eq_u32_e64 s4, s4, v50
	s_and_saveexec_b32 s5, s4
	s_cbranch_execz .LBB3_600
; %bb.595:                              ;   in Loop: Header=BB3_545 Depth=1
	global_load_dwordx2 v[24:25], v3, s[26:27] offset:24 glc dlc
	s_waitcnt vmcnt(0)
	buffer_gl1_inv
	buffer_gl0_inv
	s_clause 0x1
	global_load_dwordx2 v[22:23], v3, s[26:27] offset:40
	global_load_dwordx2 v[26:27], v3, s[26:27]
	s_mov_b32 s18, exec_lo
	s_waitcnt vmcnt(1)
	v_and_b32_e32 v2, v23, v25
	v_and_b32_e32 v22, v22, v24
	v_mul_lo_u32 v2, v2, 24
	v_mul_hi_u32 v23, v22, 24
	v_mul_lo_u32 v22, v22, 24
	v_add_nc_u32_e32 v2, v23, v2
	s_waitcnt vmcnt(0)
	v_add_co_u32 v22, vcc_lo, v26, v22
	v_add_co_ci_u32_e32 v23, vcc_lo, v27, v2, vcc_lo
	global_load_dwordx2 v[22:23], v[22:23], off glc dlc
	s_waitcnt vmcnt(0)
	global_atomic_cmpswap_x2 v[26:27], v3, v[22:25], s[26:27] offset:24 glc
	s_waitcnt vmcnt(0)
	buffer_gl1_inv
	buffer_gl0_inv
	v_cmpx_ne_u64_e64 v[26:27], v[24:25]
	s_cbranch_execz .LBB3_599
; %bb.596:                              ;   in Loop: Header=BB3_545 Depth=1
	s_mov_b32 s19, 0
	.p2align	6
.LBB3_597:                              ;   Parent Loop BB3_545 Depth=1
                                        ; =>  This Inner Loop Header: Depth=2
	s_sleep 1
	s_clause 0x1
	global_load_dwordx2 v[22:23], v3, s[26:27] offset:40
	global_load_dwordx2 v[28:29], v3, s[26:27]
	v_mov_b32_e32 v24, v26
	v_mov_b32_e32 v25, v27
	s_waitcnt vmcnt(1)
	v_and_b32_e32 v2, v22, v24
	v_and_b32_e32 v22, v23, v25
	s_waitcnt vmcnt(0)
	v_mad_u64_u32 v[26:27], null, v2, 24, v[28:29]
	v_mov_b32_e32 v2, v27
	v_mad_u64_u32 v[22:23], null, v22, 24, v[2:3]
	v_mov_b32_e32 v27, v22
	global_load_dwordx2 v[22:23], v[26:27], off glc dlc
	s_waitcnt vmcnt(0)
	global_atomic_cmpswap_x2 v[26:27], v3, v[22:25], s[26:27] offset:24 glc
	s_waitcnt vmcnt(0)
	buffer_gl1_inv
	buffer_gl0_inv
	v_cmp_eq_u64_e32 vcc_lo, v[26:27], v[24:25]
	s_or_b32 s19, vcc_lo, s19
	s_andn2_b32 exec_lo, exec_lo, s19
	s_cbranch_execnz .LBB3_597
; %bb.598:                              ;   in Loop: Header=BB3_545 Depth=1
	s_or_b32 exec_lo, exec_lo, s19
.LBB3_599:                              ;   in Loop: Header=BB3_545 Depth=1
	s_or_b32 exec_lo, exec_lo, s18
.LBB3_600:                              ;   in Loop: Header=BB3_545 Depth=1
	s_or_b32 exec_lo, exec_lo, s5
	s_clause 0x1
	global_load_dwordx2 v[28:29], v3, s[26:27] offset:40
	global_load_dwordx4 v[22:25], v3, s[26:27]
	v_readfirstlane_b32 s18, v26
	v_readfirstlane_b32 s19, v27
	s_mov_b32 s5, exec_lo
	s_waitcnt vmcnt(1)
	v_readfirstlane_b32 s20, v28
	v_readfirstlane_b32 s21, v29
	s_and_b64 s[20:21], s[18:19], s[20:21]
	s_mul_i32 s22, s21, 24
	s_mul_hi_u32 s23, s20, 24
	s_mul_i32 s24, s20, 24
	s_add_i32 s23, s23, s22
	s_waitcnt vmcnt(0)
	v_add_co_u32 v26, vcc_lo, v22, s24
	v_add_co_ci_u32_e32 v27, vcc_lo, s23, v23, vcc_lo
	s_and_saveexec_b32 s22, s4
	s_cbranch_execz .LBB3_602
; %bb.601:                              ;   in Loop: Header=BB3_545 Depth=1
	v_mov_b32_e32 v2, s5
	global_store_dwordx4 v[26:27], v[2:5], off offset:8
.LBB3_602:                              ;   in Loop: Header=BB3_545 Depth=1
	s_or_b32 exec_lo, exec_lo, s22
	s_lshl_b64 s[20:21], s[20:21], 12
	v_or_b32_e32 v2, 2, v6
	v_add_co_u32 v24, vcc_lo, v24, s20
	v_add_co_ci_u32_e32 v25, vcc_lo, s21, v25, vcc_lo
	v_cmp_gt_u64_e64 vcc_lo, s[10:11], 56
	s_lshl_b32 s5, s16, 2
	v_readfirstlane_b32 s20, v24
	s_add_i32 s5, s5, 28
	v_readfirstlane_b32 s21, v25
	s_and_b32 s5, s5, 0x1e0
	v_cndmask_b32_e32 v2, v2, v6, vcc_lo
	v_and_or_b32 v6, 0xffffff1f, v2, s5
	global_store_dwordx4 v39, v[10:13], s[20:21] offset:16
	global_store_dwordx4 v39, v[6:9], s[20:21]
	global_store_dwordx4 v39, v[14:17], s[20:21] offset:32
	global_store_dwordx4 v39, v[18:21], s[20:21] offset:48
	s_and_saveexec_b32 s5, s4
	s_cbranch_execz .LBB3_610
; %bb.603:                              ;   in Loop: Header=BB3_545 Depth=1
	s_clause 0x1
	global_load_dwordx2 v[14:15], v3, s[26:27] offset:32 glc dlc
	global_load_dwordx2 v[6:7], v3, s[26:27] offset:40
	v_mov_b32_e32 v12, s18
	v_mov_b32_e32 v13, s19
	s_waitcnt vmcnt(0)
	v_readfirstlane_b32 s20, v6
	v_readfirstlane_b32 s21, v7
	s_and_b64 s[20:21], s[20:21], s[18:19]
	s_mul_i32 s21, s21, 24
	s_mul_hi_u32 s22, s20, 24
	s_mul_i32 s20, s20, 24
	s_add_i32 s22, s22, s21
	v_add_co_u32 v10, vcc_lo, v22, s20
	v_add_co_ci_u32_e32 v11, vcc_lo, s22, v23, vcc_lo
	s_mov_b32 s20, exec_lo
	global_store_dwordx2 v[10:11], v[14:15], off
	s_waitcnt_vscnt null, 0x0
	global_atomic_cmpswap_x2 v[8:9], v3, v[12:15], s[26:27] offset:32 glc
	s_waitcnt vmcnt(0)
	v_cmpx_ne_u64_e64 v[8:9], v[14:15]
	s_cbranch_execz .LBB3_606
; %bb.604:                              ;   in Loop: Header=BB3_545 Depth=1
	s_mov_b32 s21, 0
.LBB3_605:                              ;   Parent Loop BB3_545 Depth=1
                                        ; =>  This Inner Loop Header: Depth=2
	v_mov_b32_e32 v6, s18
	v_mov_b32_e32 v7, s19
	s_sleep 1
	global_store_dwordx2 v[10:11], v[8:9], off
	s_waitcnt_vscnt null, 0x0
	global_atomic_cmpswap_x2 v[6:7], v3, v[6:9], s[26:27] offset:32 glc
	s_waitcnt vmcnt(0)
	v_cmp_eq_u64_e32 vcc_lo, v[6:7], v[8:9]
	v_mov_b32_e32 v9, v7
	v_mov_b32_e32 v8, v6
	s_or_b32 s21, vcc_lo, s21
	s_andn2_b32 exec_lo, exec_lo, s21
	s_cbranch_execnz .LBB3_605
.LBB3_606:                              ;   in Loop: Header=BB3_545 Depth=1
	s_or_b32 exec_lo, exec_lo, s20
	global_load_dwordx2 v[6:7], v3, s[26:27] offset:16
	s_mov_b32 s21, exec_lo
	s_mov_b32 s20, exec_lo
	v_mbcnt_lo_u32_b32 v2, s21, 0
	v_cmpx_eq_u32_e32 0, v2
	s_cbranch_execz .LBB3_608
; %bb.607:                              ;   in Loop: Header=BB3_545 Depth=1
	s_bcnt1_i32_b32 s21, s21
	v_mov_b32_e32 v2, s21
	s_waitcnt vmcnt(0)
	global_atomic_add_x2 v[6:7], v[2:3], off offset:8
.LBB3_608:                              ;   in Loop: Header=BB3_545 Depth=1
	s_or_b32 exec_lo, exec_lo, s20
	s_waitcnt vmcnt(0)
	global_load_dwordx2 v[8:9], v[6:7], off offset:16
	s_waitcnt vmcnt(0)
	v_cmp_eq_u64_e32 vcc_lo, 0, v[8:9]
	s_cbranch_vccnz .LBB3_610
; %bb.609:                              ;   in Loop: Header=BB3_545 Depth=1
	global_load_dword v2, v[6:7], off offset:24
	s_waitcnt vmcnt(0)
	v_and_b32_e32 v6, 0x7fffff, v2
	s_waitcnt_vscnt null, 0x0
	global_store_dwordx2 v[8:9], v[2:3], off
	v_readfirstlane_b32 m0, v6
	s_sendmsg sendmsg(MSG_INTERRUPT)
.LBB3_610:                              ;   in Loop: Header=BB3_545 Depth=1
	s_or_b32 exec_lo, exec_lo, s5
	v_add_co_u32 v6, vcc_lo, v24, v39
	v_add_co_ci_u32_e32 v7, vcc_lo, 0, v25, vcc_lo
	s_branch .LBB3_614
	.p2align	6
.LBB3_611:                              ;   in Loop: Header=BB3_614 Depth=2
	s_or_b32 exec_lo, exec_lo, s5
	v_readfirstlane_b32 s5, v2
	s_cmp_eq_u32 s5, 0
	s_cbranch_scc1 .LBB3_613
; %bb.612:                              ;   in Loop: Header=BB3_614 Depth=2
	s_sleep 1
	s_cbranch_execnz .LBB3_614
	s_branch .LBB3_616
	.p2align	6
.LBB3_613:                              ;   in Loop: Header=BB3_545 Depth=1
	s_branch .LBB3_616
.LBB3_614:                              ;   Parent Loop BB3_545 Depth=1
                                        ; =>  This Inner Loop Header: Depth=2
	v_mov_b32_e32 v2, 1
	s_and_saveexec_b32 s5, s4
	s_cbranch_execz .LBB3_611
; %bb.615:                              ;   in Loop: Header=BB3_614 Depth=2
	global_load_dword v2, v[26:27], off offset:20 glc dlc
	s_waitcnt vmcnt(0)
	buffer_gl1_inv
	buffer_gl0_inv
	v_and_b32_e32 v2, 1, v2
	s_branch .LBB3_611
.LBB3_616:                              ;   in Loop: Header=BB3_545 Depth=1
	global_load_dwordx4 v[6:9], v[6:7], off
	s_and_saveexec_b32 s5, s4
	s_cbranch_execz .LBB3_544
; %bb.617:                              ;   in Loop: Header=BB3_545 Depth=1
	s_clause 0x2
	global_load_dwordx2 v[10:11], v3, s[26:27] offset:40
	global_load_dwordx2 v[14:15], v3, s[26:27] offset:24 glc dlc
	global_load_dwordx2 v[12:13], v3, s[26:27]
	s_waitcnt vmcnt(2)
	v_add_co_u32 v2, vcc_lo, v10, 1
	v_add_co_ci_u32_e32 v16, vcc_lo, 0, v11, vcc_lo
	v_add_co_u32 v8, vcc_lo, v2, s18
	v_add_co_ci_u32_e32 v9, vcc_lo, s19, v16, vcc_lo
	v_cmp_eq_u64_e32 vcc_lo, 0, v[8:9]
	v_cndmask_b32_e32 v9, v9, v16, vcc_lo
	v_cndmask_b32_e32 v8, v8, v2, vcc_lo
	v_and_b32_e32 v2, v9, v11
	v_and_b32_e32 v10, v8, v10
	v_mul_lo_u32 v2, v2, 24
	v_mul_hi_u32 v11, v10, 24
	v_mul_lo_u32 v10, v10, 24
	v_add_nc_u32_e32 v2, v11, v2
	s_waitcnt vmcnt(0)
	v_add_co_u32 v12, vcc_lo, v12, v10
	v_mov_b32_e32 v10, v14
	v_mov_b32_e32 v11, v15
	v_add_co_ci_u32_e32 v13, vcc_lo, v13, v2, vcc_lo
	global_store_dwordx2 v[12:13], v[14:15], off
	s_waitcnt_vscnt null, 0x0
	global_atomic_cmpswap_x2 v[10:11], v3, v[8:11], s[26:27] offset:24 glc
	s_waitcnt vmcnt(0)
	v_cmp_ne_u64_e32 vcc_lo, v[10:11], v[14:15]
	s_and_b32 exec_lo, exec_lo, vcc_lo
	s_cbranch_execz .LBB3_544
; %bb.618:                              ;   in Loop: Header=BB3_545 Depth=1
	s_mov_b32 s4, 0
.LBB3_619:                              ;   Parent Loop BB3_545 Depth=1
                                        ; =>  This Inner Loop Header: Depth=2
	s_sleep 1
	global_store_dwordx2 v[12:13], v[10:11], off
	s_waitcnt_vscnt null, 0x0
	global_atomic_cmpswap_x2 v[14:15], v3, v[8:11], s[26:27] offset:24 glc
	s_waitcnt vmcnt(0)
	v_cmp_eq_u64_e32 vcc_lo, v[14:15], v[10:11]
	v_mov_b32_e32 v10, v14
	v_mov_b32_e32 v11, v15
	s_or_b32 s4, vcc_lo, s4
	s_andn2_b32 exec_lo, exec_lo, s4
	s_cbranch_execnz .LBB3_619
	s_branch .LBB3_544
.LBB3_620:
	s_branch .LBB3_649
.LBB3_621:
	s_cbranch_execz .LBB3_649
; %bb.622:
	v_readfirstlane_b32 s4, v50
	s_waitcnt vmcnt(0)
	v_mov_b32_e32 v8, 0
	v_mov_b32_e32 v9, 0
	v_cmp_eq_u32_e64 s4, s4, v50
	s_and_saveexec_b32 s5, s4
	s_cbranch_execz .LBB3_628
; %bb.623:
	v_mov_b32_e32 v2, 0
	s_mov_b32 s6, exec_lo
	global_load_dwordx2 v[5:6], v2, s[26:27] offset:24 glc dlc
	s_waitcnt vmcnt(0)
	buffer_gl1_inv
	buffer_gl0_inv
	s_clause 0x1
	global_load_dwordx2 v[3:4], v2, s[26:27] offset:40
	global_load_dwordx2 v[7:8], v2, s[26:27]
	s_waitcnt vmcnt(1)
	v_and_b32_e32 v4, v4, v6
	v_and_b32_e32 v3, v3, v5
	v_mul_lo_u32 v4, v4, 24
	v_mul_hi_u32 v9, v3, 24
	v_mul_lo_u32 v3, v3, 24
	v_add_nc_u32_e32 v4, v9, v4
	s_waitcnt vmcnt(0)
	v_add_co_u32 v3, vcc_lo, v7, v3
	v_add_co_ci_u32_e32 v4, vcc_lo, v8, v4, vcc_lo
	global_load_dwordx2 v[3:4], v[3:4], off glc dlc
	s_waitcnt vmcnt(0)
	global_atomic_cmpswap_x2 v[8:9], v2, v[3:6], s[26:27] offset:24 glc
	s_waitcnt vmcnt(0)
	buffer_gl1_inv
	buffer_gl0_inv
	v_cmpx_ne_u64_e64 v[8:9], v[5:6]
	s_cbranch_execz .LBB3_627
; %bb.624:
	s_mov_b32 s7, 0
	.p2align	6
.LBB3_625:                              ; =>This Inner Loop Header: Depth=1
	s_sleep 1
	s_clause 0x1
	global_load_dwordx2 v[3:4], v2, s[26:27] offset:40
	global_load_dwordx2 v[10:11], v2, s[26:27]
	v_mov_b32_e32 v5, v8
	v_mov_b32_e32 v6, v9
	s_waitcnt vmcnt(1)
	v_and_b32_e32 v3, v3, v5
	v_and_b32_e32 v4, v4, v6
	s_waitcnt vmcnt(0)
	v_mad_u64_u32 v[7:8], null, v3, 24, v[10:11]
	v_mov_b32_e32 v3, v8
	v_mad_u64_u32 v[3:4], null, v4, 24, v[3:4]
	v_mov_b32_e32 v8, v3
	global_load_dwordx2 v[3:4], v[7:8], off glc dlc
	s_waitcnt vmcnt(0)
	global_atomic_cmpswap_x2 v[8:9], v2, v[3:6], s[26:27] offset:24 glc
	s_waitcnt vmcnt(0)
	buffer_gl1_inv
	buffer_gl0_inv
	v_cmp_eq_u64_e32 vcc_lo, v[8:9], v[5:6]
	s_or_b32 s7, vcc_lo, s7
	s_andn2_b32 exec_lo, exec_lo, s7
	s_cbranch_execnz .LBB3_625
; %bb.626:
	s_or_b32 exec_lo, exec_lo, s7
.LBB3_627:
	s_or_b32 exec_lo, exec_lo, s6
.LBB3_628:
	s_or_b32 exec_lo, exec_lo, s5
	v_mov_b32_e32 v2, 0
	v_readfirstlane_b32 s6, v8
	v_readfirstlane_b32 s7, v9
	s_mov_b32 s5, exec_lo
	s_clause 0x1
	global_load_dwordx2 v[10:11], v2, s[26:27] offset:40
	global_load_dwordx4 v[4:7], v2, s[26:27]
	s_waitcnt vmcnt(1)
	v_readfirstlane_b32 s10, v10
	v_readfirstlane_b32 s11, v11
	s_and_b64 s[10:11], s[6:7], s[10:11]
	s_mul_i32 s16, s11, 24
	s_mul_hi_u32 s17, s10, 24
	s_mul_i32 s18, s10, 24
	s_add_i32 s17, s17, s16
	s_waitcnt vmcnt(0)
	v_add_co_u32 v8, vcc_lo, v4, s18
	v_add_co_ci_u32_e32 v9, vcc_lo, s17, v5, vcc_lo
	s_and_saveexec_b32 s16, s4
	s_cbranch_execz .LBB3_630
; %bb.629:
	v_mov_b32_e32 v10, s5
	v_mov_b32_e32 v11, v2
	;; [unrolled: 1-line block ×4, first 2 shown]
	global_store_dwordx4 v[8:9], v[10:13], off offset:8
.LBB3_630:
	s_or_b32 exec_lo, exec_lo, s16
	s_lshl_b64 s[10:11], s[10:11], 12
	s_mov_b32 s16, 0
	v_add_co_u32 v6, vcc_lo, v6, s10
	v_add_co_ci_u32_e32 v7, vcc_lo, s11, v7, vcc_lo
	s_mov_b32 s17, s16
	s_mov_b32 s18, s16
	;; [unrolled: 1-line block ×3, first 2 shown]
	v_and_or_b32 v0, 0xffffff1d, v0, 34
	v_mov_b32_e32 v3, v2
	v_readfirstlane_b32 s10, v6
	v_readfirstlane_b32 s11, v7
	v_mov_b32_e32 v10, s16
	v_mov_b32_e32 v11, s17
	v_mov_b32_e32 v12, s18
	v_mov_b32_e32 v13, s19
	global_store_dwordx4 v39, v[0:3], s[10:11]
	global_store_dwordx4 v39, v[10:13], s[10:11] offset:16
	global_store_dwordx4 v39, v[10:13], s[10:11] offset:32
	;; [unrolled: 1-line block ×3, first 2 shown]
	s_and_saveexec_b32 s5, s4
	s_cbranch_execz .LBB3_638
; %bb.631:
	v_mov_b32_e32 v6, 0
	v_mov_b32_e32 v10, s6
	;; [unrolled: 1-line block ×3, first 2 shown]
	s_clause 0x1
	global_load_dwordx2 v[12:13], v6, s[26:27] offset:32 glc dlc
	global_load_dwordx2 v[0:1], v6, s[26:27] offset:40
	s_waitcnt vmcnt(0)
	v_readfirstlane_b32 s10, v0
	v_readfirstlane_b32 s11, v1
	s_and_b64 s[10:11], s[10:11], s[6:7]
	s_mul_i32 s11, s11, 24
	s_mul_hi_u32 s16, s10, 24
	s_mul_i32 s10, s10, 24
	s_add_i32 s16, s16, s11
	v_add_co_u32 v4, vcc_lo, v4, s10
	v_add_co_ci_u32_e32 v5, vcc_lo, s16, v5, vcc_lo
	s_mov_b32 s10, exec_lo
	global_store_dwordx2 v[4:5], v[12:13], off
	s_waitcnt_vscnt null, 0x0
	global_atomic_cmpswap_x2 v[2:3], v6, v[10:13], s[26:27] offset:32 glc
	s_waitcnt vmcnt(0)
	v_cmpx_ne_u64_e64 v[2:3], v[12:13]
	s_cbranch_execz .LBB3_634
; %bb.632:
	s_mov_b32 s11, 0
.LBB3_633:                              ; =>This Inner Loop Header: Depth=1
	v_mov_b32_e32 v0, s6
	v_mov_b32_e32 v1, s7
	s_sleep 1
	global_store_dwordx2 v[4:5], v[2:3], off
	s_waitcnt_vscnt null, 0x0
	global_atomic_cmpswap_x2 v[0:1], v6, v[0:3], s[26:27] offset:32 glc
	s_waitcnt vmcnt(0)
	v_cmp_eq_u64_e32 vcc_lo, v[0:1], v[2:3]
	v_mov_b32_e32 v3, v1
	v_mov_b32_e32 v2, v0
	s_or_b32 s11, vcc_lo, s11
	s_andn2_b32 exec_lo, exec_lo, s11
	s_cbranch_execnz .LBB3_633
.LBB3_634:
	s_or_b32 exec_lo, exec_lo, s10
	v_mov_b32_e32 v3, 0
	s_mov_b32 s11, exec_lo
	s_mov_b32 s10, exec_lo
	v_mbcnt_lo_u32_b32 v2, s11, 0
	global_load_dwordx2 v[0:1], v3, s[26:27] offset:16
	v_cmpx_eq_u32_e32 0, v2
	s_cbranch_execz .LBB3_636
; %bb.635:
	s_bcnt1_i32_b32 s11, s11
	v_mov_b32_e32 v2, s11
	s_waitcnt vmcnt(0)
	global_atomic_add_x2 v[0:1], v[2:3], off offset:8
.LBB3_636:
	s_or_b32 exec_lo, exec_lo, s10
	s_waitcnt vmcnt(0)
	global_load_dwordx2 v[2:3], v[0:1], off offset:16
	s_waitcnt vmcnt(0)
	v_cmp_eq_u64_e32 vcc_lo, 0, v[2:3]
	s_cbranch_vccnz .LBB3_638
; %bb.637:
	global_load_dword v0, v[0:1], off offset:24
	v_mov_b32_e32 v1, 0
	s_waitcnt vmcnt(0)
	v_and_b32_e32 v4, 0x7fffff, v0
	s_waitcnt_vscnt null, 0x0
	global_store_dwordx2 v[2:3], v[0:1], off
	v_readfirstlane_b32 m0, v4
	s_sendmsg sendmsg(MSG_INTERRUPT)
.LBB3_638:
	s_or_b32 exec_lo, exec_lo, s5
	s_branch .LBB3_642
	.p2align	6
.LBB3_639:                              ;   in Loop: Header=BB3_642 Depth=1
	s_or_b32 exec_lo, exec_lo, s5
	v_readfirstlane_b32 s5, v0
	s_cmp_eq_u32 s5, 0
	s_cbranch_scc1 .LBB3_641
; %bb.640:                              ;   in Loop: Header=BB3_642 Depth=1
	s_sleep 1
	s_cbranch_execnz .LBB3_642
	s_branch .LBB3_644
	.p2align	6
.LBB3_641:
	s_branch .LBB3_644
.LBB3_642:                              ; =>This Inner Loop Header: Depth=1
	v_mov_b32_e32 v0, 1
	s_and_saveexec_b32 s5, s4
	s_cbranch_execz .LBB3_639
; %bb.643:                              ;   in Loop: Header=BB3_642 Depth=1
	global_load_dword v0, v[8:9], off offset:20 glc dlc
	s_waitcnt vmcnt(0)
	buffer_gl1_inv
	buffer_gl0_inv
	v_and_b32_e32 v0, 1, v0
	s_branch .LBB3_639
.LBB3_644:
	s_and_saveexec_b32 s5, s4
	s_cbranch_execz .LBB3_648
; %bb.645:
	v_mov_b32_e32 v6, 0
	s_clause 0x2
	global_load_dwordx2 v[2:3], v6, s[26:27] offset:40
	global_load_dwordx2 v[7:8], v6, s[26:27] offset:24 glc dlc
	global_load_dwordx2 v[4:5], v6, s[26:27]
	s_waitcnt vmcnt(2)
	v_add_co_u32 v9, vcc_lo, v2, 1
	v_add_co_ci_u32_e32 v10, vcc_lo, 0, v3, vcc_lo
	v_add_co_u32 v0, vcc_lo, v9, s6
	v_add_co_ci_u32_e32 v1, vcc_lo, s7, v10, vcc_lo
	v_cmp_eq_u64_e32 vcc_lo, 0, v[0:1]
	v_cndmask_b32_e32 v1, v1, v10, vcc_lo
	v_cndmask_b32_e32 v0, v0, v9, vcc_lo
	v_and_b32_e32 v3, v1, v3
	v_and_b32_e32 v2, v0, v2
	v_mul_lo_u32 v3, v3, 24
	v_mul_hi_u32 v9, v2, 24
	v_mul_lo_u32 v2, v2, 24
	v_add_nc_u32_e32 v3, v9, v3
	s_waitcnt vmcnt(0)
	v_add_co_u32 v4, vcc_lo, v4, v2
	v_mov_b32_e32 v2, v7
	v_add_co_ci_u32_e32 v5, vcc_lo, v5, v3, vcc_lo
	v_mov_b32_e32 v3, v8
	global_store_dwordx2 v[4:5], v[7:8], off
	s_waitcnt_vscnt null, 0x0
	global_atomic_cmpswap_x2 v[2:3], v6, v[0:3], s[26:27] offset:24 glc
	s_waitcnt vmcnt(0)
	v_cmp_ne_u64_e32 vcc_lo, v[2:3], v[7:8]
	s_and_b32 exec_lo, exec_lo, vcc_lo
	s_cbranch_execz .LBB3_648
; %bb.646:
	s_mov_b32 s4, 0
.LBB3_647:                              ; =>This Inner Loop Header: Depth=1
	s_sleep 1
	global_store_dwordx2 v[4:5], v[2:3], off
	s_waitcnt_vscnt null, 0x0
	global_atomic_cmpswap_x2 v[7:8], v6, v[0:3], s[26:27] offset:24 glc
	s_waitcnt vmcnt(0)
	v_cmp_eq_u64_e32 vcc_lo, v[7:8], v[2:3]
	v_mov_b32_e32 v2, v7
	v_mov_b32_e32 v3, v8
	s_or_b32 s4, vcc_lo, s4
	s_andn2_b32 exec_lo, exec_lo, s4
	s_cbranch_execnz .LBB3_647
.LBB3_648:
	s_or_b32 exec_lo, exec_lo, s5
.LBB3_649:
	v_readfirstlane_b32 s4, v50
	s_waitcnt vmcnt(0)
	v_mov_b32_e32 v6, 0
	v_mov_b32_e32 v7, 0
	v_cmp_eq_u32_e64 s4, s4, v50
	s_and_saveexec_b32 s5, s4
	s_cbranch_execz .LBB3_655
; %bb.650:
	v_mov_b32_e32 v0, 0
	s_mov_b32 s6, exec_lo
	global_load_dwordx2 v[3:4], v0, s[26:27] offset:24 glc dlc
	s_waitcnt vmcnt(0)
	buffer_gl1_inv
	buffer_gl0_inv
	s_clause 0x1
	global_load_dwordx2 v[1:2], v0, s[26:27] offset:40
	global_load_dwordx2 v[5:6], v0, s[26:27]
	s_waitcnt vmcnt(1)
	v_and_b32_e32 v2, v2, v4
	v_and_b32_e32 v1, v1, v3
	v_mul_lo_u32 v2, v2, 24
	v_mul_hi_u32 v7, v1, 24
	v_mul_lo_u32 v1, v1, 24
	v_add_nc_u32_e32 v2, v7, v2
	s_waitcnt vmcnt(0)
	v_add_co_u32 v1, vcc_lo, v5, v1
	v_add_co_ci_u32_e32 v2, vcc_lo, v6, v2, vcc_lo
	global_load_dwordx2 v[1:2], v[1:2], off glc dlc
	s_waitcnt vmcnt(0)
	global_atomic_cmpswap_x2 v[6:7], v0, v[1:4], s[26:27] offset:24 glc
	s_waitcnt vmcnt(0)
	buffer_gl1_inv
	buffer_gl0_inv
	v_cmpx_ne_u64_e64 v[6:7], v[3:4]
	s_cbranch_execz .LBB3_654
; %bb.651:
	s_mov_b32 s7, 0
	.p2align	6
.LBB3_652:                              ; =>This Inner Loop Header: Depth=1
	s_sleep 1
	s_clause 0x1
	global_load_dwordx2 v[1:2], v0, s[26:27] offset:40
	global_load_dwordx2 v[8:9], v0, s[26:27]
	v_mov_b32_e32 v3, v6
	v_mov_b32_e32 v4, v7
	s_waitcnt vmcnt(1)
	v_and_b32_e32 v1, v1, v3
	v_and_b32_e32 v2, v2, v4
	s_waitcnt vmcnt(0)
	v_mad_u64_u32 v[5:6], null, v1, 24, v[8:9]
	v_mov_b32_e32 v1, v6
	v_mad_u64_u32 v[1:2], null, v2, 24, v[1:2]
	v_mov_b32_e32 v6, v1
	global_load_dwordx2 v[1:2], v[5:6], off glc dlc
	s_waitcnt vmcnt(0)
	global_atomic_cmpswap_x2 v[6:7], v0, v[1:4], s[26:27] offset:24 glc
	s_waitcnt vmcnt(0)
	buffer_gl1_inv
	buffer_gl0_inv
	v_cmp_eq_u64_e32 vcc_lo, v[6:7], v[3:4]
	s_or_b32 s7, vcc_lo, s7
	s_andn2_b32 exec_lo, exec_lo, s7
	s_cbranch_execnz .LBB3_652
; %bb.653:
	s_or_b32 exec_lo, exec_lo, s7
.LBB3_654:
	s_or_b32 exec_lo, exec_lo, s6
.LBB3_655:
	s_or_b32 exec_lo, exec_lo, s5
	v_mov_b32_e32 v5, 0
	v_readfirstlane_b32 s6, v6
	v_readfirstlane_b32 s7, v7
	s_mov_b32 s5, exec_lo
	s_clause 0x1
	global_load_dwordx2 v[8:9], v5, s[26:27] offset:40
	global_load_dwordx4 v[0:3], v5, s[26:27]
	s_waitcnt vmcnt(1)
	v_readfirstlane_b32 s10, v8
	v_readfirstlane_b32 s11, v9
	s_and_b64 s[10:11], s[6:7], s[10:11]
	s_mul_i32 s16, s11, 24
	s_mul_hi_u32 s17, s10, 24
	s_mul_i32 s18, s10, 24
	s_add_i32 s17, s17, s16
	s_waitcnt vmcnt(0)
	v_add_co_u32 v8, vcc_lo, v0, s18
	v_add_co_ci_u32_e32 v9, vcc_lo, s17, v1, vcc_lo
	s_and_saveexec_b32 s16, s4
	s_cbranch_execz .LBB3_657
; %bb.656:
	v_mov_b32_e32 v4, s5
	v_mov_b32_e32 v6, 2
	;; [unrolled: 1-line block ×3, first 2 shown]
	global_store_dwordx4 v[8:9], v[4:7], off offset:8
.LBB3_657:
	s_or_b32 exec_lo, exec_lo, s16
	s_lshl_b64 s[10:11], s[10:11], 12
	s_mov_b32 s16, 0
	v_add_co_u32 v2, vcc_lo, v2, s10
	v_add_co_ci_u32_e32 v3, vcc_lo, s11, v3, vcc_lo
	s_mov_b32 s17, s16
	v_add_co_u32 v10, vcc_lo, v2, v39
	s_mov_b32 s18, s16
	s_mov_b32 s19, s16
	v_mov_b32_e32 v4, 33
	v_mov_b32_e32 v6, v5
	v_mov_b32_e32 v7, v5
	v_readfirstlane_b32 s10, v2
	v_readfirstlane_b32 s11, v3
	v_mov_b32_e32 v12, s16
	v_add_co_ci_u32_e32 v11, vcc_lo, 0, v3, vcc_lo
	v_mov_b32_e32 v13, s17
	v_mov_b32_e32 v14, s18
	;; [unrolled: 1-line block ×3, first 2 shown]
	global_store_dwordx4 v39, v[4:7], s[10:11]
	global_store_dwordx4 v39, v[12:15], s[10:11] offset:16
	global_store_dwordx4 v39, v[12:15], s[10:11] offset:32
	;; [unrolled: 1-line block ×3, first 2 shown]
	s_and_saveexec_b32 s5, s4
	s_cbranch_execz .LBB3_665
; %bb.658:
	v_mov_b32_e32 v6, 0
	v_mov_b32_e32 v12, s6
	;; [unrolled: 1-line block ×3, first 2 shown]
	s_clause 0x1
	global_load_dwordx2 v[14:15], v6, s[26:27] offset:32 glc dlc
	global_load_dwordx2 v[2:3], v6, s[26:27] offset:40
	s_waitcnt vmcnt(0)
	v_readfirstlane_b32 s10, v2
	v_readfirstlane_b32 s11, v3
	s_and_b64 s[10:11], s[10:11], s[6:7]
	s_mul_i32 s11, s11, 24
	s_mul_hi_u32 s16, s10, 24
	s_mul_i32 s10, s10, 24
	s_add_i32 s16, s16, s11
	v_add_co_u32 v4, vcc_lo, v0, s10
	v_add_co_ci_u32_e32 v5, vcc_lo, s16, v1, vcc_lo
	s_mov_b32 s10, exec_lo
	global_store_dwordx2 v[4:5], v[14:15], off
	s_waitcnt_vscnt null, 0x0
	global_atomic_cmpswap_x2 v[2:3], v6, v[12:15], s[26:27] offset:32 glc
	s_waitcnt vmcnt(0)
	v_cmpx_ne_u64_e64 v[2:3], v[14:15]
	s_cbranch_execz .LBB3_661
; %bb.659:
	s_mov_b32 s11, 0
.LBB3_660:                              ; =>This Inner Loop Header: Depth=1
	v_mov_b32_e32 v0, s6
	v_mov_b32_e32 v1, s7
	s_sleep 1
	global_store_dwordx2 v[4:5], v[2:3], off
	s_waitcnt_vscnt null, 0x0
	global_atomic_cmpswap_x2 v[0:1], v6, v[0:3], s[26:27] offset:32 glc
	s_waitcnt vmcnt(0)
	v_cmp_eq_u64_e32 vcc_lo, v[0:1], v[2:3]
	v_mov_b32_e32 v3, v1
	v_mov_b32_e32 v2, v0
	s_or_b32 s11, vcc_lo, s11
	s_andn2_b32 exec_lo, exec_lo, s11
	s_cbranch_execnz .LBB3_660
.LBB3_661:
	s_or_b32 exec_lo, exec_lo, s10
	v_mov_b32_e32 v3, 0
	s_mov_b32 s11, exec_lo
	s_mov_b32 s10, exec_lo
	v_mbcnt_lo_u32_b32 v2, s11, 0
	global_load_dwordx2 v[0:1], v3, s[26:27] offset:16
	v_cmpx_eq_u32_e32 0, v2
	s_cbranch_execz .LBB3_663
; %bb.662:
	s_bcnt1_i32_b32 s11, s11
	v_mov_b32_e32 v2, s11
	s_waitcnt vmcnt(0)
	global_atomic_add_x2 v[0:1], v[2:3], off offset:8
.LBB3_663:
	s_or_b32 exec_lo, exec_lo, s10
	s_waitcnt vmcnt(0)
	global_load_dwordx2 v[2:3], v[0:1], off offset:16
	s_waitcnt vmcnt(0)
	v_cmp_eq_u64_e32 vcc_lo, 0, v[2:3]
	s_cbranch_vccnz .LBB3_665
; %bb.664:
	global_load_dword v0, v[0:1], off offset:24
	v_mov_b32_e32 v1, 0
	s_waitcnt vmcnt(0)
	v_and_b32_e32 v4, 0x7fffff, v0
	s_waitcnt_vscnt null, 0x0
	global_store_dwordx2 v[2:3], v[0:1], off
	v_readfirstlane_b32 m0, v4
	s_sendmsg sendmsg(MSG_INTERRUPT)
.LBB3_665:
	s_or_b32 exec_lo, exec_lo, s5
	s_branch .LBB3_669
	.p2align	6
.LBB3_666:                              ;   in Loop: Header=BB3_669 Depth=1
	s_or_b32 exec_lo, exec_lo, s5
	v_readfirstlane_b32 s5, v0
	s_cmp_eq_u32 s5, 0
	s_cbranch_scc1 .LBB3_668
; %bb.667:                              ;   in Loop: Header=BB3_669 Depth=1
	s_sleep 1
	s_cbranch_execnz .LBB3_669
	s_branch .LBB3_671
	.p2align	6
.LBB3_668:
	s_branch .LBB3_671
.LBB3_669:                              ; =>This Inner Loop Header: Depth=1
	v_mov_b32_e32 v0, 1
	s_and_saveexec_b32 s5, s4
	s_cbranch_execz .LBB3_666
; %bb.670:                              ;   in Loop: Header=BB3_669 Depth=1
	global_load_dword v0, v[8:9], off offset:20 glc dlc
	s_waitcnt vmcnt(0)
	buffer_gl1_inv
	buffer_gl0_inv
	v_and_b32_e32 v0, 1, v0
	s_branch .LBB3_666
.LBB3_671:
	global_load_dwordx2 v[0:1], v[10:11], off
	s_and_saveexec_b32 s5, s4
	s_cbranch_execz .LBB3_675
; %bb.672:
	v_mov_b32_e32 v8, 0
	s_clause 0x2
	global_load_dwordx2 v[4:5], v8, s[26:27] offset:40
	global_load_dwordx2 v[9:10], v8, s[26:27] offset:24 glc dlc
	global_load_dwordx2 v[6:7], v8, s[26:27]
	s_waitcnt vmcnt(2)
	v_add_co_u32 v11, vcc_lo, v4, 1
	v_add_co_ci_u32_e32 v12, vcc_lo, 0, v5, vcc_lo
	v_add_co_u32 v2, vcc_lo, v11, s6
	v_add_co_ci_u32_e32 v3, vcc_lo, s7, v12, vcc_lo
	v_cmp_eq_u64_e32 vcc_lo, 0, v[2:3]
	v_cndmask_b32_e32 v3, v3, v12, vcc_lo
	v_cndmask_b32_e32 v2, v2, v11, vcc_lo
	v_and_b32_e32 v5, v3, v5
	v_and_b32_e32 v4, v2, v4
	v_mul_lo_u32 v5, v5, 24
	v_mul_hi_u32 v11, v4, 24
	v_mul_lo_u32 v4, v4, 24
	v_add_nc_u32_e32 v5, v11, v5
	s_waitcnt vmcnt(0)
	v_add_co_u32 v6, vcc_lo, v6, v4
	v_mov_b32_e32 v4, v9
	v_add_co_ci_u32_e32 v7, vcc_lo, v7, v5, vcc_lo
	v_mov_b32_e32 v5, v10
	global_store_dwordx2 v[6:7], v[9:10], off
	s_waitcnt_vscnt null, 0x0
	global_atomic_cmpswap_x2 v[4:5], v8, v[2:5], s[26:27] offset:24 glc
	s_waitcnt vmcnt(0)
	v_cmp_ne_u64_e32 vcc_lo, v[4:5], v[9:10]
	s_and_b32 exec_lo, exec_lo, vcc_lo
	s_cbranch_execz .LBB3_675
; %bb.673:
	s_mov_b32 s4, 0
.LBB3_674:                              ; =>This Inner Loop Header: Depth=1
	s_sleep 1
	global_store_dwordx2 v[6:7], v[4:5], off
	s_waitcnt_vscnt null, 0x0
	global_atomic_cmpswap_x2 v[9:10], v8, v[2:5], s[26:27] offset:24 glc
	s_waitcnt vmcnt(0)
	v_cmp_eq_u64_e32 vcc_lo, v[9:10], v[4:5]
	v_mov_b32_e32 v4, v9
	v_mov_b32_e32 v5, v10
	s_or_b32 s4, vcc_lo, s4
	s_andn2_b32 exec_lo, exec_lo, s4
	s_cbranch_execnz .LBB3_674
.LBB3_675:
	s_or_b32 exec_lo, exec_lo, s5
	s_and_b32 vcc_lo, exec_lo, s35
	s_cbranch_vccz .LBB3_754
; %bb.676:
	s_waitcnt vmcnt(0)
	v_and_b32_e32 v31, 2, v0
	v_mov_b32_e32 v6, 0
	v_and_b32_e32 v2, -3, v0
	v_mov_b32_e32 v3, v1
	v_mov_b32_e32 v7, 2
	v_mov_b32_e32 v8, 1
	s_mov_b64 s[10:11], 3
	s_getpc_b64 s[6:7]
	s_add_u32 s6, s6, .str.6@rel32@lo+4
	s_addc_u32 s7, s7, .str.6@rel32@hi+12
	s_branch .LBB3_678
.LBB3_677:                              ;   in Loop: Header=BB3_678 Depth=1
	s_or_b32 exec_lo, exec_lo, s5
	s_sub_u32 s10, s10, s16
	s_subb_u32 s11, s11, s17
	s_add_u32 s6, s6, s16
	s_addc_u32 s7, s7, s17
	s_cmp_lg_u64 s[10:11], 0
	s_cbranch_scc0 .LBB3_753
.LBB3_678:                              ; =>This Loop Header: Depth=1
                                        ;     Child Loop BB3_687 Depth 2
                                        ;     Child Loop BB3_683 Depth 2
	;; [unrolled: 1-line block ×11, first 2 shown]
	v_cmp_lt_u64_e64 s4, s[10:11], 56
	v_cmp_gt_u64_e64 s5, s[10:11], 7
                                        ; implicit-def: $vgpr11_vgpr12
                                        ; implicit-def: $sgpr22
	s_and_b32 s4, s4, exec_lo
	s_cselect_b32 s17, s11, 0
	s_cselect_b32 s16, s10, 56
	s_and_b32 vcc_lo, exec_lo, s5
	s_mov_b32 s4, -1
	s_cbranch_vccz .LBB3_685
; %bb.679:                              ;   in Loop: Header=BB3_678 Depth=1
	s_andn2_b32 vcc_lo, exec_lo, s4
	s_mov_b64 s[4:5], s[6:7]
	s_cbranch_vccz .LBB3_689
.LBB3_680:                              ;   in Loop: Header=BB3_678 Depth=1
	s_cmp_gt_u32 s22, 7
	s_cbranch_scc1 .LBB3_690
.LBB3_681:                              ;   in Loop: Header=BB3_678 Depth=1
	v_mov_b32_e32 v13, 0
	v_mov_b32_e32 v14, 0
	s_cmp_eq_u32 s22, 0
	s_cbranch_scc1 .LBB3_684
; %bb.682:                              ;   in Loop: Header=BB3_678 Depth=1
	s_mov_b64 s[18:19], 0
	s_mov_b64 s[20:21], 0
.LBB3_683:                              ;   Parent Loop BB3_678 Depth=1
                                        ; =>  This Inner Loop Header: Depth=2
	s_add_u32 s24, s4, s20
	s_addc_u32 s25, s5, s21
	s_add_u32 s20, s20, 1
	global_load_ubyte v4, v6, s[24:25]
	s_addc_u32 s21, s21, 0
	s_waitcnt vmcnt(0)
	v_and_b32_e32 v5, 0xffff, v4
	v_lshlrev_b64 v[4:5], s18, v[5:6]
	s_add_u32 s18, s18, 8
	s_addc_u32 s19, s19, 0
	s_cmp_lg_u32 s22, s20
	v_or_b32_e32 v13, v4, v13
	v_or_b32_e32 v14, v5, v14
	s_cbranch_scc1 .LBB3_683
.LBB3_684:                              ;   in Loop: Header=BB3_678 Depth=1
	s_mov_b32 s23, 0
	s_cbranch_execz .LBB3_691
	s_branch .LBB3_692
.LBB3_685:                              ;   in Loop: Header=BB3_678 Depth=1
	v_mov_b32_e32 v11, 0
	v_mov_b32_e32 v12, 0
	s_cmp_eq_u64 s[10:11], 0
	s_mov_b64 s[4:5], 0
	s_cbranch_scc1 .LBB3_688
; %bb.686:                              ;   in Loop: Header=BB3_678 Depth=1
	v_mov_b32_e32 v11, 0
	v_mov_b32_e32 v12, 0
	s_lshl_b64 s[18:19], s[16:17], 3
	s_mov_b64 s[20:21], s[6:7]
.LBB3_687:                              ;   Parent Loop BB3_678 Depth=1
                                        ; =>  This Inner Loop Header: Depth=2
	global_load_ubyte v4, v6, s[20:21]
	s_waitcnt vmcnt(0)
	v_and_b32_e32 v5, 0xffff, v4
	v_lshlrev_b64 v[4:5], s4, v[5:6]
	s_add_u32 s4, s4, 8
	s_addc_u32 s5, s5, 0
	s_add_u32 s20, s20, 1
	s_addc_u32 s21, s21, 0
	s_cmp_lg_u32 s18, s4
	v_or_b32_e32 v11, v4, v11
	v_or_b32_e32 v12, v5, v12
	s_cbranch_scc1 .LBB3_687
.LBB3_688:                              ;   in Loop: Header=BB3_678 Depth=1
	s_mov_b32 s22, 0
	s_mov_b64 s[4:5], s[6:7]
	s_cbranch_execnz .LBB3_680
.LBB3_689:                              ;   in Loop: Header=BB3_678 Depth=1
	global_load_dwordx2 v[11:12], v6, s[6:7]
	s_add_i32 s22, s16, -8
	s_add_u32 s4, s6, 8
	s_addc_u32 s5, s7, 0
	s_cmp_gt_u32 s22, 7
	s_cbranch_scc0 .LBB3_681
.LBB3_690:                              ;   in Loop: Header=BB3_678 Depth=1
                                        ; implicit-def: $vgpr13_vgpr14
                                        ; implicit-def: $sgpr23
.LBB3_691:                              ;   in Loop: Header=BB3_678 Depth=1
	global_load_dwordx2 v[13:14], v6, s[4:5]
	s_add_i32 s23, s22, -8
	s_add_u32 s4, s4, 8
	s_addc_u32 s5, s5, 0
.LBB3_692:                              ;   in Loop: Header=BB3_678 Depth=1
	s_cmp_gt_u32 s23, 7
	s_cbranch_scc1 .LBB3_697
; %bb.693:                              ;   in Loop: Header=BB3_678 Depth=1
	v_mov_b32_e32 v15, 0
	v_mov_b32_e32 v16, 0
	s_cmp_eq_u32 s23, 0
	s_cbranch_scc1 .LBB3_696
; %bb.694:                              ;   in Loop: Header=BB3_678 Depth=1
	s_mov_b64 s[18:19], 0
	s_mov_b64 s[20:21], 0
.LBB3_695:                              ;   Parent Loop BB3_678 Depth=1
                                        ; =>  This Inner Loop Header: Depth=2
	s_add_u32 s24, s4, s20
	s_addc_u32 s25, s5, s21
	s_add_u32 s20, s20, 1
	global_load_ubyte v4, v6, s[24:25]
	s_addc_u32 s21, s21, 0
	s_waitcnt vmcnt(0)
	v_and_b32_e32 v5, 0xffff, v4
	v_lshlrev_b64 v[4:5], s18, v[5:6]
	s_add_u32 s18, s18, 8
	s_addc_u32 s19, s19, 0
	s_cmp_lg_u32 s23, s20
	v_or_b32_e32 v15, v4, v15
	v_or_b32_e32 v16, v5, v16
	s_cbranch_scc1 .LBB3_695
.LBB3_696:                              ;   in Loop: Header=BB3_678 Depth=1
	s_mov_b32 s22, 0
	s_cbranch_execz .LBB3_698
	s_branch .LBB3_699
.LBB3_697:                              ;   in Loop: Header=BB3_678 Depth=1
                                        ; implicit-def: $sgpr22
.LBB3_698:                              ;   in Loop: Header=BB3_678 Depth=1
	global_load_dwordx2 v[15:16], v6, s[4:5]
	s_add_i32 s22, s23, -8
	s_add_u32 s4, s4, 8
	s_addc_u32 s5, s5, 0
.LBB3_699:                              ;   in Loop: Header=BB3_678 Depth=1
	s_cmp_gt_u32 s22, 7
	s_cbranch_scc1 .LBB3_704
; %bb.700:                              ;   in Loop: Header=BB3_678 Depth=1
	v_mov_b32_e32 v17, 0
	v_mov_b32_e32 v18, 0
	s_cmp_eq_u32 s22, 0
	s_cbranch_scc1 .LBB3_703
; %bb.701:                              ;   in Loop: Header=BB3_678 Depth=1
	s_mov_b64 s[18:19], 0
	s_mov_b64 s[20:21], 0
.LBB3_702:                              ;   Parent Loop BB3_678 Depth=1
                                        ; =>  This Inner Loop Header: Depth=2
	s_add_u32 s24, s4, s20
	s_addc_u32 s25, s5, s21
	s_add_u32 s20, s20, 1
	global_load_ubyte v4, v6, s[24:25]
	s_addc_u32 s21, s21, 0
	s_waitcnt vmcnt(0)
	v_and_b32_e32 v5, 0xffff, v4
	v_lshlrev_b64 v[4:5], s18, v[5:6]
	s_add_u32 s18, s18, 8
	s_addc_u32 s19, s19, 0
	s_cmp_lg_u32 s22, s20
	v_or_b32_e32 v17, v4, v17
	v_or_b32_e32 v18, v5, v18
	s_cbranch_scc1 .LBB3_702
.LBB3_703:                              ;   in Loop: Header=BB3_678 Depth=1
	s_mov_b32 s23, 0
	s_cbranch_execz .LBB3_705
	s_branch .LBB3_706
.LBB3_704:                              ;   in Loop: Header=BB3_678 Depth=1
                                        ; implicit-def: $vgpr17_vgpr18
                                        ; implicit-def: $sgpr23
.LBB3_705:                              ;   in Loop: Header=BB3_678 Depth=1
	global_load_dwordx2 v[17:18], v6, s[4:5]
	s_add_i32 s23, s22, -8
	s_add_u32 s4, s4, 8
	s_addc_u32 s5, s5, 0
.LBB3_706:                              ;   in Loop: Header=BB3_678 Depth=1
	s_cmp_gt_u32 s23, 7
	s_cbranch_scc1 .LBB3_711
; %bb.707:                              ;   in Loop: Header=BB3_678 Depth=1
	v_mov_b32_e32 v19, 0
	v_mov_b32_e32 v20, 0
	s_cmp_eq_u32 s23, 0
	s_cbranch_scc1 .LBB3_710
; %bb.708:                              ;   in Loop: Header=BB3_678 Depth=1
	s_mov_b64 s[18:19], 0
	s_mov_b64 s[20:21], 0
.LBB3_709:                              ;   Parent Loop BB3_678 Depth=1
                                        ; =>  This Inner Loop Header: Depth=2
	s_add_u32 s24, s4, s20
	s_addc_u32 s25, s5, s21
	s_add_u32 s20, s20, 1
	global_load_ubyte v4, v6, s[24:25]
	s_addc_u32 s21, s21, 0
	s_waitcnt vmcnt(0)
	v_and_b32_e32 v5, 0xffff, v4
	v_lshlrev_b64 v[4:5], s18, v[5:6]
	s_add_u32 s18, s18, 8
	s_addc_u32 s19, s19, 0
	s_cmp_lg_u32 s23, s20
	v_or_b32_e32 v19, v4, v19
	v_or_b32_e32 v20, v5, v20
	s_cbranch_scc1 .LBB3_709
.LBB3_710:                              ;   in Loop: Header=BB3_678 Depth=1
	s_mov_b32 s22, 0
	s_cbranch_execz .LBB3_712
	s_branch .LBB3_713
.LBB3_711:                              ;   in Loop: Header=BB3_678 Depth=1
                                        ; implicit-def: $sgpr22
.LBB3_712:                              ;   in Loop: Header=BB3_678 Depth=1
	global_load_dwordx2 v[19:20], v6, s[4:5]
	s_add_i32 s22, s23, -8
	s_add_u32 s4, s4, 8
	s_addc_u32 s5, s5, 0
.LBB3_713:                              ;   in Loop: Header=BB3_678 Depth=1
	s_cmp_gt_u32 s22, 7
	s_cbranch_scc1 .LBB3_718
; %bb.714:                              ;   in Loop: Header=BB3_678 Depth=1
	v_mov_b32_e32 v21, 0
	v_mov_b32_e32 v22, 0
	s_cmp_eq_u32 s22, 0
	s_cbranch_scc1 .LBB3_717
; %bb.715:                              ;   in Loop: Header=BB3_678 Depth=1
	s_mov_b64 s[18:19], 0
	s_mov_b64 s[20:21], 0
.LBB3_716:                              ;   Parent Loop BB3_678 Depth=1
                                        ; =>  This Inner Loop Header: Depth=2
	s_add_u32 s24, s4, s20
	s_addc_u32 s25, s5, s21
	s_add_u32 s20, s20, 1
	global_load_ubyte v4, v6, s[24:25]
	s_addc_u32 s21, s21, 0
	s_waitcnt vmcnt(0)
	v_and_b32_e32 v5, 0xffff, v4
	v_lshlrev_b64 v[4:5], s18, v[5:6]
	s_add_u32 s18, s18, 8
	s_addc_u32 s19, s19, 0
	s_cmp_lg_u32 s22, s20
	v_or_b32_e32 v21, v4, v21
	v_or_b32_e32 v22, v5, v22
	s_cbranch_scc1 .LBB3_716
.LBB3_717:                              ;   in Loop: Header=BB3_678 Depth=1
	s_mov_b32 s23, 0
	s_cbranch_execz .LBB3_719
	s_branch .LBB3_720
.LBB3_718:                              ;   in Loop: Header=BB3_678 Depth=1
                                        ; implicit-def: $vgpr21_vgpr22
                                        ; implicit-def: $sgpr23
.LBB3_719:                              ;   in Loop: Header=BB3_678 Depth=1
	global_load_dwordx2 v[21:22], v6, s[4:5]
	s_add_i32 s23, s22, -8
	s_add_u32 s4, s4, 8
	s_addc_u32 s5, s5, 0
.LBB3_720:                              ;   in Loop: Header=BB3_678 Depth=1
	s_cmp_gt_u32 s23, 7
	s_cbranch_scc1 .LBB3_725
; %bb.721:                              ;   in Loop: Header=BB3_678 Depth=1
	v_mov_b32_e32 v23, 0
	v_mov_b32_e32 v24, 0
	s_cmp_eq_u32 s23, 0
	s_cbranch_scc1 .LBB3_724
; %bb.722:                              ;   in Loop: Header=BB3_678 Depth=1
	s_mov_b64 s[18:19], 0
	s_mov_b64 s[20:21], s[4:5]
.LBB3_723:                              ;   Parent Loop BB3_678 Depth=1
                                        ; =>  This Inner Loop Header: Depth=2
	global_load_ubyte v4, v6, s[20:21]
	s_add_i32 s23, s23, -1
	s_waitcnt vmcnt(0)
	v_and_b32_e32 v5, 0xffff, v4
	v_lshlrev_b64 v[4:5], s18, v[5:6]
	s_add_u32 s18, s18, 8
	s_addc_u32 s19, s19, 0
	s_add_u32 s20, s20, 1
	s_addc_u32 s21, s21, 0
	s_cmp_lg_u32 s23, 0
	v_or_b32_e32 v23, v4, v23
	v_or_b32_e32 v24, v5, v24
	s_cbranch_scc1 .LBB3_723
.LBB3_724:                              ;   in Loop: Header=BB3_678 Depth=1
	s_cbranch_execz .LBB3_726
	s_branch .LBB3_727
.LBB3_725:                              ;   in Loop: Header=BB3_678 Depth=1
.LBB3_726:                              ;   in Loop: Header=BB3_678 Depth=1
	global_load_dwordx2 v[23:24], v6, s[4:5]
.LBB3_727:                              ;   in Loop: Header=BB3_678 Depth=1
	v_readfirstlane_b32 s4, v50
	s_waitcnt vmcnt(0)
	v_mov_b32_e32 v4, 0
	v_mov_b32_e32 v5, 0
	v_cmp_eq_u32_e64 s4, s4, v50
	s_and_saveexec_b32 s5, s4
	s_cbranch_execz .LBB3_733
; %bb.728:                              ;   in Loop: Header=BB3_678 Depth=1
	global_load_dwordx2 v[27:28], v6, s[26:27] offset:24 glc dlc
	s_waitcnt vmcnt(0)
	buffer_gl1_inv
	buffer_gl0_inv
	s_clause 0x1
	global_load_dwordx2 v[4:5], v6, s[26:27] offset:40
	global_load_dwordx2 v[9:10], v6, s[26:27]
	s_mov_b32 s18, exec_lo
	s_waitcnt vmcnt(1)
	v_and_b32_e32 v5, v5, v28
	v_and_b32_e32 v4, v4, v27
	v_mul_lo_u32 v5, v5, 24
	v_mul_hi_u32 v25, v4, 24
	v_mul_lo_u32 v4, v4, 24
	v_add_nc_u32_e32 v5, v25, v5
	s_waitcnt vmcnt(0)
	v_add_co_u32 v4, vcc_lo, v9, v4
	v_add_co_ci_u32_e32 v5, vcc_lo, v10, v5, vcc_lo
	global_load_dwordx2 v[25:26], v[4:5], off glc dlc
	s_waitcnt vmcnt(0)
	global_atomic_cmpswap_x2 v[4:5], v6, v[25:28], s[26:27] offset:24 glc
	s_waitcnt vmcnt(0)
	buffer_gl1_inv
	buffer_gl0_inv
	v_cmpx_ne_u64_e64 v[4:5], v[27:28]
	s_cbranch_execz .LBB3_732
; %bb.729:                              ;   in Loop: Header=BB3_678 Depth=1
	s_mov_b32 s19, 0
	.p2align	6
.LBB3_730:                              ;   Parent Loop BB3_678 Depth=1
                                        ; =>  This Inner Loop Header: Depth=2
	s_sleep 1
	s_clause 0x1
	global_load_dwordx2 v[9:10], v6, s[26:27] offset:40
	global_load_dwordx2 v[25:26], v6, s[26:27]
	v_mov_b32_e32 v28, v5
	v_mov_b32_e32 v27, v4
	s_waitcnt vmcnt(1)
	v_and_b32_e32 v4, v9, v27
	v_and_b32_e32 v9, v10, v28
	s_waitcnt vmcnt(0)
	v_mad_u64_u32 v[4:5], null, v4, 24, v[25:26]
	v_mad_u64_u32 v[9:10], null, v9, 24, v[5:6]
	v_mov_b32_e32 v5, v9
	global_load_dwordx2 v[25:26], v[4:5], off glc dlc
	s_waitcnt vmcnt(0)
	global_atomic_cmpswap_x2 v[4:5], v6, v[25:28], s[26:27] offset:24 glc
	s_waitcnt vmcnt(0)
	buffer_gl1_inv
	buffer_gl0_inv
	v_cmp_eq_u64_e32 vcc_lo, v[4:5], v[27:28]
	s_or_b32 s19, vcc_lo, s19
	s_andn2_b32 exec_lo, exec_lo, s19
	s_cbranch_execnz .LBB3_730
; %bb.731:                              ;   in Loop: Header=BB3_678 Depth=1
	s_or_b32 exec_lo, exec_lo, s19
.LBB3_732:                              ;   in Loop: Header=BB3_678 Depth=1
	s_or_b32 exec_lo, exec_lo, s18
.LBB3_733:                              ;   in Loop: Header=BB3_678 Depth=1
	s_or_b32 exec_lo, exec_lo, s5
	s_clause 0x1
	global_load_dwordx2 v[9:10], v6, s[26:27] offset:40
	global_load_dwordx4 v[25:28], v6, s[26:27]
	v_readfirstlane_b32 s18, v4
	v_readfirstlane_b32 s19, v5
	s_mov_b32 s5, exec_lo
	s_waitcnt vmcnt(1)
	v_readfirstlane_b32 s20, v9
	v_readfirstlane_b32 s21, v10
	s_and_b64 s[20:21], s[18:19], s[20:21]
	s_mul_i32 s22, s21, 24
	s_mul_hi_u32 s23, s20, 24
	s_mul_i32 s24, s20, 24
	s_add_i32 s23, s23, s22
	s_waitcnt vmcnt(0)
	v_add_co_u32 v29, vcc_lo, v25, s24
	v_add_co_ci_u32_e32 v30, vcc_lo, s23, v26, vcc_lo
	s_and_saveexec_b32 s22, s4
	s_cbranch_execz .LBB3_735
; %bb.734:                              ;   in Loop: Header=BB3_678 Depth=1
	v_mov_b32_e32 v5, s5
	global_store_dwordx4 v[29:30], v[5:8], off offset:8
.LBB3_735:                              ;   in Loop: Header=BB3_678 Depth=1
	s_or_b32 exec_lo, exec_lo, s22
	s_lshl_b64 s[20:21], s[20:21], 12
	v_cmp_gt_u64_e64 vcc_lo, s[10:11], 56
	v_or_b32_e32 v5, v2, v31
	v_add_co_u32 v27, s5, v27, s20
	v_add_co_ci_u32_e64 v28, s5, s21, v28, s5
	s_lshl_b32 s5, s16, 2
	v_or_b32_e32 v4, 0, v3
	v_cndmask_b32_e32 v2, v5, v2, vcc_lo
	s_add_i32 s5, s5, 28
	v_readfirstlane_b32 s20, v27
	s_and_b32 s5, s5, 0x1e0
	v_cndmask_b32_e32 v10, v4, v3, vcc_lo
	v_readfirstlane_b32 s21, v28
	v_and_or_b32 v9, 0xffffff1f, v2, s5
	global_store_dwordx4 v39, v[9:12], s[20:21]
	global_store_dwordx4 v39, v[13:16], s[20:21] offset:16
	global_store_dwordx4 v39, v[17:20], s[20:21] offset:32
	;; [unrolled: 1-line block ×3, first 2 shown]
	s_and_saveexec_b32 s5, s4
	s_cbranch_execz .LBB3_743
; %bb.736:                              ;   in Loop: Header=BB3_678 Depth=1
	s_clause 0x1
	global_load_dwordx2 v[13:14], v6, s[26:27] offset:32 glc dlc
	global_load_dwordx2 v[2:3], v6, s[26:27] offset:40
	v_mov_b32_e32 v11, s18
	v_mov_b32_e32 v12, s19
	s_waitcnt vmcnt(0)
	v_readfirstlane_b32 s20, v2
	v_readfirstlane_b32 s21, v3
	s_and_b64 s[20:21], s[20:21], s[18:19]
	s_mul_i32 s21, s21, 24
	s_mul_hi_u32 s22, s20, 24
	s_mul_i32 s20, s20, 24
	s_add_i32 s22, s22, s21
	v_add_co_u32 v9, vcc_lo, v25, s20
	v_add_co_ci_u32_e32 v10, vcc_lo, s22, v26, vcc_lo
	s_mov_b32 s20, exec_lo
	global_store_dwordx2 v[9:10], v[13:14], off
	s_waitcnt_vscnt null, 0x0
	global_atomic_cmpswap_x2 v[4:5], v6, v[11:14], s[26:27] offset:32 glc
	s_waitcnt vmcnt(0)
	v_cmpx_ne_u64_e64 v[4:5], v[13:14]
	s_cbranch_execz .LBB3_739
; %bb.737:                              ;   in Loop: Header=BB3_678 Depth=1
	s_mov_b32 s21, 0
.LBB3_738:                              ;   Parent Loop BB3_678 Depth=1
                                        ; =>  This Inner Loop Header: Depth=2
	v_mov_b32_e32 v2, s18
	v_mov_b32_e32 v3, s19
	s_sleep 1
	global_store_dwordx2 v[9:10], v[4:5], off
	s_waitcnt_vscnt null, 0x0
	global_atomic_cmpswap_x2 v[2:3], v6, v[2:5], s[26:27] offset:32 glc
	s_waitcnt vmcnt(0)
	v_cmp_eq_u64_e32 vcc_lo, v[2:3], v[4:5]
	v_mov_b32_e32 v5, v3
	v_mov_b32_e32 v4, v2
	s_or_b32 s21, vcc_lo, s21
	s_andn2_b32 exec_lo, exec_lo, s21
	s_cbranch_execnz .LBB3_738
.LBB3_739:                              ;   in Loop: Header=BB3_678 Depth=1
	s_or_b32 exec_lo, exec_lo, s20
	global_load_dwordx2 v[2:3], v6, s[26:27] offset:16
	s_mov_b32 s21, exec_lo
	s_mov_b32 s20, exec_lo
	v_mbcnt_lo_u32_b32 v4, s21, 0
	v_cmpx_eq_u32_e32 0, v4
	s_cbranch_execz .LBB3_741
; %bb.740:                              ;   in Loop: Header=BB3_678 Depth=1
	s_bcnt1_i32_b32 s21, s21
	v_mov_b32_e32 v5, s21
	s_waitcnt vmcnt(0)
	global_atomic_add_x2 v[2:3], v[5:6], off offset:8
.LBB3_741:                              ;   in Loop: Header=BB3_678 Depth=1
	s_or_b32 exec_lo, exec_lo, s20
	s_waitcnt vmcnt(0)
	global_load_dwordx2 v[9:10], v[2:3], off offset:16
	s_waitcnt vmcnt(0)
	v_cmp_eq_u64_e32 vcc_lo, 0, v[9:10]
	s_cbranch_vccnz .LBB3_743
; %bb.742:                              ;   in Loop: Header=BB3_678 Depth=1
	global_load_dword v5, v[2:3], off offset:24
	s_waitcnt vmcnt(0)
	v_and_b32_e32 v2, 0x7fffff, v5
	s_waitcnt_vscnt null, 0x0
	global_store_dwordx2 v[9:10], v[5:6], off
	v_readfirstlane_b32 m0, v2
	s_sendmsg sendmsg(MSG_INTERRUPT)
.LBB3_743:                              ;   in Loop: Header=BB3_678 Depth=1
	s_or_b32 exec_lo, exec_lo, s5
	v_add_co_u32 v2, vcc_lo, v27, v39
	v_add_co_ci_u32_e32 v3, vcc_lo, 0, v28, vcc_lo
	s_branch .LBB3_747
	.p2align	6
.LBB3_744:                              ;   in Loop: Header=BB3_747 Depth=2
	s_or_b32 exec_lo, exec_lo, s5
	v_readfirstlane_b32 s5, v4
	s_cmp_eq_u32 s5, 0
	s_cbranch_scc1 .LBB3_746
; %bb.745:                              ;   in Loop: Header=BB3_747 Depth=2
	s_sleep 1
	s_cbranch_execnz .LBB3_747
	s_branch .LBB3_749
	.p2align	6
.LBB3_746:                              ;   in Loop: Header=BB3_678 Depth=1
	s_branch .LBB3_749
.LBB3_747:                              ;   Parent Loop BB3_678 Depth=1
                                        ; =>  This Inner Loop Header: Depth=2
	v_mov_b32_e32 v4, 1
	s_and_saveexec_b32 s5, s4
	s_cbranch_execz .LBB3_744
; %bb.748:                              ;   in Loop: Header=BB3_747 Depth=2
	global_load_dword v4, v[29:30], off offset:20 glc dlc
	s_waitcnt vmcnt(0)
	buffer_gl1_inv
	buffer_gl0_inv
	v_and_b32_e32 v4, 1, v4
	s_branch .LBB3_744
.LBB3_749:                              ;   in Loop: Header=BB3_678 Depth=1
	global_load_dwordx4 v[2:5], v[2:3], off
	s_and_saveexec_b32 s5, s4
	s_cbranch_execz .LBB3_677
; %bb.750:                              ;   in Loop: Header=BB3_678 Depth=1
	s_clause 0x2
	global_load_dwordx2 v[4:5], v6, s[26:27] offset:40
	global_load_dwordx2 v[13:14], v6, s[26:27] offset:24 glc dlc
	global_load_dwordx2 v[11:12], v6, s[26:27]
	s_waitcnt vmcnt(2)
	v_add_co_u32 v15, vcc_lo, v4, 1
	v_add_co_ci_u32_e32 v16, vcc_lo, 0, v5, vcc_lo
	v_add_co_u32 v9, vcc_lo, v15, s18
	v_add_co_ci_u32_e32 v10, vcc_lo, s19, v16, vcc_lo
	v_cmp_eq_u64_e32 vcc_lo, 0, v[9:10]
	v_cndmask_b32_e32 v10, v10, v16, vcc_lo
	v_cndmask_b32_e32 v9, v9, v15, vcc_lo
	v_and_b32_e32 v5, v10, v5
	v_and_b32_e32 v4, v9, v4
	v_mul_lo_u32 v5, v5, 24
	v_mul_hi_u32 v15, v4, 24
	v_mul_lo_u32 v4, v4, 24
	v_add_nc_u32_e32 v5, v15, v5
	s_waitcnt vmcnt(0)
	v_add_co_u32 v4, vcc_lo, v11, v4
	v_mov_b32_e32 v11, v13
	v_add_co_ci_u32_e32 v5, vcc_lo, v12, v5, vcc_lo
	v_mov_b32_e32 v12, v14
	global_store_dwordx2 v[4:5], v[13:14], off
	s_waitcnt_vscnt null, 0x0
	global_atomic_cmpswap_x2 v[11:12], v6, v[9:12], s[26:27] offset:24 glc
	s_waitcnt vmcnt(0)
	v_cmp_ne_u64_e32 vcc_lo, v[11:12], v[13:14]
	s_and_b32 exec_lo, exec_lo, vcc_lo
	s_cbranch_execz .LBB3_677
; %bb.751:                              ;   in Loop: Header=BB3_678 Depth=1
	s_mov_b32 s4, 0
.LBB3_752:                              ;   Parent Loop BB3_678 Depth=1
                                        ; =>  This Inner Loop Header: Depth=2
	s_sleep 1
	global_store_dwordx2 v[4:5], v[11:12], off
	s_waitcnt_vscnt null, 0x0
	global_atomic_cmpswap_x2 v[13:14], v6, v[9:12], s[26:27] offset:24 glc
	s_waitcnt vmcnt(0)
	v_cmp_eq_u64_e32 vcc_lo, v[13:14], v[11:12]
	v_mov_b32_e32 v11, v13
	v_mov_b32_e32 v12, v14
	s_or_b32 s4, vcc_lo, s4
	s_andn2_b32 exec_lo, exec_lo, s4
	s_cbranch_execnz .LBB3_752
	s_branch .LBB3_677
.LBB3_753:
	s_branch .LBB3_782
.LBB3_754:
                                        ; implicit-def: $vgpr2_vgpr3
	s_cbranch_execz .LBB3_782
; %bb.755:
	v_readfirstlane_b32 s4, v50
	v_mov_b32_e32 v8, 0
	v_mov_b32_e32 v9, 0
	v_cmp_eq_u32_e64 s4, s4, v50
	s_and_saveexec_b32 s5, s4
	s_cbranch_execz .LBB3_761
; %bb.756:
	s_waitcnt vmcnt(0)
	v_mov_b32_e32 v2, 0
	s_mov_b32 s6, exec_lo
	global_load_dwordx2 v[5:6], v2, s[26:27] offset:24 glc dlc
	s_waitcnt vmcnt(0)
	buffer_gl1_inv
	buffer_gl0_inv
	s_clause 0x1
	global_load_dwordx2 v[3:4], v2, s[26:27] offset:40
	global_load_dwordx2 v[7:8], v2, s[26:27]
	s_waitcnt vmcnt(1)
	v_and_b32_e32 v4, v4, v6
	v_and_b32_e32 v3, v3, v5
	v_mul_lo_u32 v4, v4, 24
	v_mul_hi_u32 v9, v3, 24
	v_mul_lo_u32 v3, v3, 24
	v_add_nc_u32_e32 v4, v9, v4
	s_waitcnt vmcnt(0)
	v_add_co_u32 v3, vcc_lo, v7, v3
	v_add_co_ci_u32_e32 v4, vcc_lo, v8, v4, vcc_lo
	global_load_dwordx2 v[3:4], v[3:4], off glc dlc
	s_waitcnt vmcnt(0)
	global_atomic_cmpswap_x2 v[8:9], v2, v[3:6], s[26:27] offset:24 glc
	s_waitcnt vmcnt(0)
	buffer_gl1_inv
	buffer_gl0_inv
	v_cmpx_ne_u64_e64 v[8:9], v[5:6]
	s_cbranch_execz .LBB3_760
; %bb.757:
	s_mov_b32 s7, 0
	.p2align	6
.LBB3_758:                              ; =>This Inner Loop Header: Depth=1
	s_sleep 1
	s_clause 0x1
	global_load_dwordx2 v[3:4], v2, s[26:27] offset:40
	global_load_dwordx2 v[10:11], v2, s[26:27]
	v_mov_b32_e32 v5, v8
	v_mov_b32_e32 v6, v9
	s_waitcnt vmcnt(1)
	v_and_b32_e32 v3, v3, v5
	v_and_b32_e32 v4, v4, v6
	s_waitcnt vmcnt(0)
	v_mad_u64_u32 v[7:8], null, v3, 24, v[10:11]
	v_mov_b32_e32 v3, v8
	v_mad_u64_u32 v[3:4], null, v4, 24, v[3:4]
	v_mov_b32_e32 v8, v3
	global_load_dwordx2 v[3:4], v[7:8], off glc dlc
	s_waitcnt vmcnt(0)
	global_atomic_cmpswap_x2 v[8:9], v2, v[3:6], s[26:27] offset:24 glc
	s_waitcnt vmcnt(0)
	buffer_gl1_inv
	buffer_gl0_inv
	v_cmp_eq_u64_e32 vcc_lo, v[8:9], v[5:6]
	s_or_b32 s7, vcc_lo, s7
	s_andn2_b32 exec_lo, exec_lo, s7
	s_cbranch_execnz .LBB3_758
; %bb.759:
	s_or_b32 exec_lo, exec_lo, s7
.LBB3_760:
	s_or_b32 exec_lo, exec_lo, s6
.LBB3_761:
	s_or_b32 exec_lo, exec_lo, s5
	s_waitcnt vmcnt(0)
	v_mov_b32_e32 v2, 0
	v_readfirstlane_b32 s6, v8
	v_readfirstlane_b32 s7, v9
	s_mov_b32 s5, exec_lo
	s_clause 0x1
	global_load_dwordx2 v[10:11], v2, s[26:27] offset:40
	global_load_dwordx4 v[4:7], v2, s[26:27]
	s_waitcnt vmcnt(1)
	v_readfirstlane_b32 s10, v10
	v_readfirstlane_b32 s11, v11
	s_and_b64 s[10:11], s[6:7], s[10:11]
	s_mul_i32 s16, s11, 24
	s_mul_hi_u32 s17, s10, 24
	s_mul_i32 s18, s10, 24
	s_add_i32 s17, s17, s16
	s_waitcnt vmcnt(0)
	v_add_co_u32 v8, vcc_lo, v4, s18
	v_add_co_ci_u32_e32 v9, vcc_lo, s17, v5, vcc_lo
	s_and_saveexec_b32 s16, s4
	s_cbranch_execz .LBB3_763
; %bb.762:
	v_mov_b32_e32 v10, s5
	v_mov_b32_e32 v11, v2
	;; [unrolled: 1-line block ×4, first 2 shown]
	global_store_dwordx4 v[8:9], v[10:13], off offset:8
.LBB3_763:
	s_or_b32 exec_lo, exec_lo, s16
	s_lshl_b64 s[10:11], s[10:11], 12
	s_mov_b32 s16, 0
	v_add_co_u32 v6, vcc_lo, v6, s10
	v_add_co_ci_u32_e32 v7, vcc_lo, s11, v7, vcc_lo
	s_mov_b32 s17, s16
	v_readfirstlane_b32 s10, v6
	v_add_co_u32 v6, vcc_lo, v6, v39
	s_mov_b32 s18, s16
	s_mov_b32 s19, s16
	v_and_or_b32 v0, 0xffffff1f, v0, 32
	v_mov_b32_e32 v3, v2
	v_readfirstlane_b32 s11, v7
	v_mov_b32_e32 v10, s16
	v_add_co_ci_u32_e32 v7, vcc_lo, 0, v7, vcc_lo
	v_mov_b32_e32 v11, s17
	v_mov_b32_e32 v12, s18
	v_mov_b32_e32 v13, s19
	global_store_dwordx4 v39, v[0:3], s[10:11]
	global_store_dwordx4 v39, v[10:13], s[10:11] offset:16
	global_store_dwordx4 v39, v[10:13], s[10:11] offset:32
	;; [unrolled: 1-line block ×3, first 2 shown]
	s_and_saveexec_b32 s5, s4
	s_cbranch_execz .LBB3_771
; %bb.764:
	v_mov_b32_e32 v10, 0
	v_mov_b32_e32 v11, s6
	;; [unrolled: 1-line block ×3, first 2 shown]
	s_clause 0x1
	global_load_dwordx2 v[13:14], v10, s[26:27] offset:32 glc dlc
	global_load_dwordx2 v[0:1], v10, s[26:27] offset:40
	s_waitcnt vmcnt(0)
	v_readfirstlane_b32 s10, v0
	v_readfirstlane_b32 s11, v1
	s_and_b64 s[10:11], s[10:11], s[6:7]
	s_mul_i32 s11, s11, 24
	s_mul_hi_u32 s16, s10, 24
	s_mul_i32 s10, s10, 24
	s_add_i32 s16, s16, s11
	v_add_co_u32 v4, vcc_lo, v4, s10
	v_add_co_ci_u32_e32 v5, vcc_lo, s16, v5, vcc_lo
	s_mov_b32 s10, exec_lo
	global_store_dwordx2 v[4:5], v[13:14], off
	s_waitcnt_vscnt null, 0x0
	global_atomic_cmpswap_x2 v[2:3], v10, v[11:14], s[26:27] offset:32 glc
	s_waitcnt vmcnt(0)
	v_cmpx_ne_u64_e64 v[2:3], v[13:14]
	s_cbranch_execz .LBB3_767
; %bb.765:
	s_mov_b32 s11, 0
.LBB3_766:                              ; =>This Inner Loop Header: Depth=1
	v_mov_b32_e32 v0, s6
	v_mov_b32_e32 v1, s7
	s_sleep 1
	global_store_dwordx2 v[4:5], v[2:3], off
	s_waitcnt_vscnt null, 0x0
	global_atomic_cmpswap_x2 v[0:1], v10, v[0:3], s[26:27] offset:32 glc
	s_waitcnt vmcnt(0)
	v_cmp_eq_u64_e32 vcc_lo, v[0:1], v[2:3]
	v_mov_b32_e32 v3, v1
	v_mov_b32_e32 v2, v0
	s_or_b32 s11, vcc_lo, s11
	s_andn2_b32 exec_lo, exec_lo, s11
	s_cbranch_execnz .LBB3_766
.LBB3_767:
	s_or_b32 exec_lo, exec_lo, s10
	v_mov_b32_e32 v3, 0
	s_mov_b32 s11, exec_lo
	s_mov_b32 s10, exec_lo
	v_mbcnt_lo_u32_b32 v2, s11, 0
	global_load_dwordx2 v[0:1], v3, s[26:27] offset:16
	v_cmpx_eq_u32_e32 0, v2
	s_cbranch_execz .LBB3_769
; %bb.768:
	s_bcnt1_i32_b32 s11, s11
	v_mov_b32_e32 v2, s11
	s_waitcnt vmcnt(0)
	global_atomic_add_x2 v[0:1], v[2:3], off offset:8
.LBB3_769:
	s_or_b32 exec_lo, exec_lo, s10
	s_waitcnt vmcnt(0)
	global_load_dwordx2 v[2:3], v[0:1], off offset:16
	s_waitcnt vmcnt(0)
	v_cmp_eq_u64_e32 vcc_lo, 0, v[2:3]
	s_cbranch_vccnz .LBB3_771
; %bb.770:
	global_load_dword v0, v[0:1], off offset:24
	v_mov_b32_e32 v1, 0
	s_waitcnt vmcnt(0)
	v_and_b32_e32 v4, 0x7fffff, v0
	s_waitcnt_vscnt null, 0x0
	global_store_dwordx2 v[2:3], v[0:1], off
	v_readfirstlane_b32 m0, v4
	s_sendmsg sendmsg(MSG_INTERRUPT)
.LBB3_771:
	s_or_b32 exec_lo, exec_lo, s5
	s_branch .LBB3_775
	.p2align	6
.LBB3_772:                              ;   in Loop: Header=BB3_775 Depth=1
	s_or_b32 exec_lo, exec_lo, s5
	v_readfirstlane_b32 s5, v0
	s_cmp_eq_u32 s5, 0
	s_cbranch_scc1 .LBB3_774
; %bb.773:                              ;   in Loop: Header=BB3_775 Depth=1
	s_sleep 1
	s_cbranch_execnz .LBB3_775
	s_branch .LBB3_777
	.p2align	6
.LBB3_774:
	s_branch .LBB3_777
.LBB3_775:                              ; =>This Inner Loop Header: Depth=1
	v_mov_b32_e32 v0, 1
	s_and_saveexec_b32 s5, s4
	s_cbranch_execz .LBB3_772
; %bb.776:                              ;   in Loop: Header=BB3_775 Depth=1
	global_load_dword v0, v[8:9], off offset:20 glc dlc
	s_waitcnt vmcnt(0)
	buffer_gl1_inv
	buffer_gl0_inv
	v_and_b32_e32 v0, 1, v0
	s_branch .LBB3_772
.LBB3_777:
	global_load_dwordx2 v[2:3], v[6:7], off
	s_and_saveexec_b32 s5, s4
	s_cbranch_execz .LBB3_781
; %bb.778:
	v_mov_b32_e32 v8, 0
	s_clause 0x2
	global_load_dwordx2 v[0:1], v8, s[26:27] offset:40
	global_load_dwordx2 v[9:10], v8, s[26:27] offset:24 glc dlc
	global_load_dwordx2 v[6:7], v8, s[26:27]
	s_waitcnt vmcnt(2)
	v_add_co_u32 v11, vcc_lo, v0, 1
	v_add_co_ci_u32_e32 v12, vcc_lo, 0, v1, vcc_lo
	v_add_co_u32 v4, vcc_lo, v11, s6
	v_add_co_ci_u32_e32 v5, vcc_lo, s7, v12, vcc_lo
	v_cmp_eq_u64_e32 vcc_lo, 0, v[4:5]
	v_cndmask_b32_e32 v5, v5, v12, vcc_lo
	v_cndmask_b32_e32 v4, v4, v11, vcc_lo
	v_and_b32_e32 v1, v5, v1
	v_and_b32_e32 v0, v4, v0
	v_mul_lo_u32 v1, v1, 24
	v_mul_hi_u32 v11, v0, 24
	v_mul_lo_u32 v0, v0, 24
	v_add_nc_u32_e32 v1, v11, v1
	s_waitcnt vmcnt(0)
	v_add_co_u32 v0, vcc_lo, v6, v0
	v_mov_b32_e32 v6, v9
	v_add_co_ci_u32_e32 v1, vcc_lo, v7, v1, vcc_lo
	v_mov_b32_e32 v7, v10
	global_store_dwordx2 v[0:1], v[9:10], off
	s_waitcnt_vscnt null, 0x0
	global_atomic_cmpswap_x2 v[6:7], v8, v[4:7], s[26:27] offset:24 glc
	s_waitcnt vmcnt(0)
	v_cmp_ne_u64_e32 vcc_lo, v[6:7], v[9:10]
	s_and_b32 exec_lo, exec_lo, vcc_lo
	s_cbranch_execz .LBB3_781
; %bb.779:
	s_mov_b32 s4, 0
.LBB3_780:                              ; =>This Inner Loop Header: Depth=1
	s_sleep 1
	global_store_dwordx2 v[0:1], v[6:7], off
	s_waitcnt_vscnt null, 0x0
	global_atomic_cmpswap_x2 v[9:10], v8, v[4:7], s[26:27] offset:24 glc
	s_waitcnt vmcnt(0)
	v_cmp_eq_u64_e32 vcc_lo, v[9:10], v[6:7]
	v_mov_b32_e32 v6, v9
	v_mov_b32_e32 v7, v10
	s_or_b32 s4, vcc_lo, s4
	s_andn2_b32 exec_lo, exec_lo, s4
	s_cbranch_execnz .LBB3_780
.LBB3_781:
	s_or_b32 exec_lo, exec_lo, s5
.LBB3_782:
	v_readfirstlane_b32 s4, v50
	s_waitcnt vmcnt(0)
	v_mov_b32_e32 v0, 0
	v_mov_b32_e32 v1, 0
	v_cmp_eq_u32_e64 s4, s4, v50
	s_and_saveexec_b32 s5, s4
	s_cbranch_execz .LBB3_788
; %bb.783:
	v_mov_b32_e32 v4, 0
	s_mov_b32 s6, exec_lo
	global_load_dwordx2 v[7:8], v4, s[26:27] offset:24 glc dlc
	s_waitcnt vmcnt(0)
	buffer_gl1_inv
	buffer_gl0_inv
	s_clause 0x1
	global_load_dwordx2 v[0:1], v4, s[26:27] offset:40
	global_load_dwordx2 v[5:6], v4, s[26:27]
	s_waitcnt vmcnt(1)
	v_and_b32_e32 v1, v1, v8
	v_and_b32_e32 v0, v0, v7
	v_mul_lo_u32 v1, v1, 24
	v_mul_hi_u32 v9, v0, 24
	v_mul_lo_u32 v0, v0, 24
	v_add_nc_u32_e32 v1, v9, v1
	s_waitcnt vmcnt(0)
	v_add_co_u32 v0, vcc_lo, v5, v0
	v_add_co_ci_u32_e32 v1, vcc_lo, v6, v1, vcc_lo
	global_load_dwordx2 v[5:6], v[0:1], off glc dlc
	s_waitcnt vmcnt(0)
	global_atomic_cmpswap_x2 v[0:1], v4, v[5:8], s[26:27] offset:24 glc
	s_waitcnt vmcnt(0)
	buffer_gl1_inv
	buffer_gl0_inv
	v_cmpx_ne_u64_e64 v[0:1], v[7:8]
	s_cbranch_execz .LBB3_787
; %bb.784:
	s_mov_b32 s7, 0
	.p2align	6
.LBB3_785:                              ; =>This Inner Loop Header: Depth=1
	s_sleep 1
	s_clause 0x1
	global_load_dwordx2 v[5:6], v4, s[26:27] offset:40
	global_load_dwordx2 v[9:10], v4, s[26:27]
	v_mov_b32_e32 v8, v1
	v_mov_b32_e32 v7, v0
	s_waitcnt vmcnt(1)
	v_and_b32_e32 v0, v5, v7
	v_and_b32_e32 v5, v6, v8
	s_waitcnt vmcnt(0)
	v_mad_u64_u32 v[0:1], null, v0, 24, v[9:10]
	v_mad_u64_u32 v[5:6], null, v5, 24, v[1:2]
	v_mov_b32_e32 v1, v5
	global_load_dwordx2 v[5:6], v[0:1], off glc dlc
	s_waitcnt vmcnt(0)
	global_atomic_cmpswap_x2 v[0:1], v4, v[5:8], s[26:27] offset:24 glc
	s_waitcnt vmcnt(0)
	buffer_gl1_inv
	buffer_gl0_inv
	v_cmp_eq_u64_e32 vcc_lo, v[0:1], v[7:8]
	s_or_b32 s7, vcc_lo, s7
	s_andn2_b32 exec_lo, exec_lo, s7
	s_cbranch_execnz .LBB3_785
; %bb.786:
	s_or_b32 exec_lo, exec_lo, s7
.LBB3_787:
	s_or_b32 exec_lo, exec_lo, s6
.LBB3_788:
	s_or_b32 exec_lo, exec_lo, s5
	v_mov_b32_e32 v5, 0
	v_readfirstlane_b32 s6, v0
	v_readfirstlane_b32 s7, v1
	s_mov_b32 s5, exec_lo
	s_clause 0x1
	global_load_dwordx2 v[10:11], v5, s[26:27] offset:40
	global_load_dwordx4 v[6:9], v5, s[26:27]
	s_waitcnt vmcnt(1)
	v_readfirstlane_b32 s10, v10
	v_readfirstlane_b32 s11, v11
	s_and_b64 s[10:11], s[6:7], s[10:11]
	s_mul_i32 s16, s11, 24
	s_mul_hi_u32 s17, s10, 24
	s_mul_i32 s18, s10, 24
	s_add_i32 s17, s17, s16
	s_waitcnt vmcnt(0)
	v_add_co_u32 v10, vcc_lo, v6, s18
	v_add_co_ci_u32_e32 v11, vcc_lo, s17, v7, vcc_lo
	s_and_saveexec_b32 s16, s4
	s_cbranch_execz .LBB3_790
; %bb.789:
	v_mov_b32_e32 v4, s5
	v_mov_b32_e32 v13, v5
	;; [unrolled: 1-line block ×5, first 2 shown]
	global_store_dwordx4 v[10:11], v[12:15], off offset:8
.LBB3_790:
	s_or_b32 exec_lo, exec_lo, s16
	s_lshl_b64 s[10:11], s[10:11], 12
	s_mov_b32 s16, 0
	v_add_co_u32 v0, vcc_lo, v8, s10
	v_add_co_ci_u32_e32 v1, vcc_lo, s11, v9, vcc_lo
	s_mov_b32 s17, s16
	s_mov_b32 s18, s16
	;; [unrolled: 1-line block ×3, first 2 shown]
	v_and_or_b32 v2, 0xffffff1d, v2, 34
	v_mov_b32_e32 v4, 58
	v_readfirstlane_b32 s10, v0
	v_readfirstlane_b32 s11, v1
	v_mov_b32_e32 v12, s16
	v_mov_b32_e32 v13, s17
	;; [unrolled: 1-line block ×4, first 2 shown]
	global_store_dwordx4 v39, v[2:5], s[10:11]
	global_store_dwordx4 v39, v[12:15], s[10:11] offset:16
	global_store_dwordx4 v39, v[12:15], s[10:11] offset:32
	;; [unrolled: 1-line block ×3, first 2 shown]
	s_and_saveexec_b32 s5, s4
	s_cbranch_execz .LBB3_798
; %bb.791:
	v_mov_b32_e32 v8, 0
	v_mov_b32_e32 v12, s6
	;; [unrolled: 1-line block ×3, first 2 shown]
	s_clause 0x1
	global_load_dwordx2 v[14:15], v8, s[26:27] offset:32 glc dlc
	global_load_dwordx2 v[0:1], v8, s[26:27] offset:40
	s_waitcnt vmcnt(0)
	v_readfirstlane_b32 s10, v0
	v_readfirstlane_b32 s11, v1
	s_and_b64 s[10:11], s[10:11], s[6:7]
	s_mul_i32 s11, s11, 24
	s_mul_hi_u32 s16, s10, 24
	s_mul_i32 s10, s10, 24
	s_add_i32 s16, s16, s11
	v_add_co_u32 v4, vcc_lo, v6, s10
	v_add_co_ci_u32_e32 v5, vcc_lo, s16, v7, vcc_lo
	s_mov_b32 s10, exec_lo
	global_store_dwordx2 v[4:5], v[14:15], off
	s_waitcnt_vscnt null, 0x0
	global_atomic_cmpswap_x2 v[2:3], v8, v[12:15], s[26:27] offset:32 glc
	s_waitcnt vmcnt(0)
	v_cmpx_ne_u64_e64 v[2:3], v[14:15]
	s_cbranch_execz .LBB3_794
; %bb.792:
	s_mov_b32 s11, 0
.LBB3_793:                              ; =>This Inner Loop Header: Depth=1
	v_mov_b32_e32 v0, s6
	v_mov_b32_e32 v1, s7
	s_sleep 1
	global_store_dwordx2 v[4:5], v[2:3], off
	s_waitcnt_vscnt null, 0x0
	global_atomic_cmpswap_x2 v[0:1], v8, v[0:3], s[26:27] offset:32 glc
	s_waitcnt vmcnt(0)
	v_cmp_eq_u64_e32 vcc_lo, v[0:1], v[2:3]
	v_mov_b32_e32 v3, v1
	v_mov_b32_e32 v2, v0
	s_or_b32 s11, vcc_lo, s11
	s_andn2_b32 exec_lo, exec_lo, s11
	s_cbranch_execnz .LBB3_793
.LBB3_794:
	s_or_b32 exec_lo, exec_lo, s10
	v_mov_b32_e32 v3, 0
	s_mov_b32 s11, exec_lo
	s_mov_b32 s10, exec_lo
	v_mbcnt_lo_u32_b32 v2, s11, 0
	global_load_dwordx2 v[0:1], v3, s[26:27] offset:16
	v_cmpx_eq_u32_e32 0, v2
	s_cbranch_execz .LBB3_796
; %bb.795:
	s_bcnt1_i32_b32 s11, s11
	v_mov_b32_e32 v2, s11
	s_waitcnt vmcnt(0)
	global_atomic_add_x2 v[0:1], v[2:3], off offset:8
.LBB3_796:
	s_or_b32 exec_lo, exec_lo, s10
	s_waitcnt vmcnt(0)
	global_load_dwordx2 v[2:3], v[0:1], off offset:16
	s_waitcnt vmcnt(0)
	v_cmp_eq_u64_e32 vcc_lo, 0, v[2:3]
	s_cbranch_vccnz .LBB3_798
; %bb.797:
	global_load_dword v0, v[0:1], off offset:24
	v_mov_b32_e32 v1, 0
	s_waitcnt vmcnt(0)
	v_and_b32_e32 v4, 0x7fffff, v0
	s_waitcnt_vscnt null, 0x0
	global_store_dwordx2 v[2:3], v[0:1], off
	v_readfirstlane_b32 m0, v4
	s_sendmsg sendmsg(MSG_INTERRUPT)
.LBB3_798:
	s_or_b32 exec_lo, exec_lo, s5
	s_branch .LBB3_802
	.p2align	6
.LBB3_799:                              ;   in Loop: Header=BB3_802 Depth=1
	s_or_b32 exec_lo, exec_lo, s5
	v_readfirstlane_b32 s5, v0
	s_cmp_eq_u32 s5, 0
	s_cbranch_scc1 .LBB3_801
; %bb.800:                              ;   in Loop: Header=BB3_802 Depth=1
	s_sleep 1
	s_cbranch_execnz .LBB3_802
	s_branch .LBB3_804
	.p2align	6
.LBB3_801:
	s_branch .LBB3_804
.LBB3_802:                              ; =>This Inner Loop Header: Depth=1
	v_mov_b32_e32 v0, 1
	s_and_saveexec_b32 s5, s4
	s_cbranch_execz .LBB3_799
; %bb.803:                              ;   in Loop: Header=BB3_802 Depth=1
	global_load_dword v0, v[10:11], off offset:20 glc dlc
	s_waitcnt vmcnt(0)
	buffer_gl1_inv
	buffer_gl0_inv
	v_and_b32_e32 v0, 1, v0
	s_branch .LBB3_799
.LBB3_804:
	s_and_saveexec_b32 s5, s4
	s_cbranch_execz .LBB3_808
; %bb.805:
	v_mov_b32_e32 v6, 0
	s_clause 0x2
	global_load_dwordx2 v[2:3], v6, s[26:27] offset:40
	global_load_dwordx2 v[7:8], v6, s[26:27] offset:24 glc dlc
	global_load_dwordx2 v[4:5], v6, s[26:27]
	s_waitcnt vmcnt(2)
	v_add_co_u32 v9, vcc_lo, v2, 1
	v_add_co_ci_u32_e32 v10, vcc_lo, 0, v3, vcc_lo
	v_add_co_u32 v0, vcc_lo, v9, s6
	v_add_co_ci_u32_e32 v1, vcc_lo, s7, v10, vcc_lo
	v_cmp_eq_u64_e32 vcc_lo, 0, v[0:1]
	v_cndmask_b32_e32 v1, v1, v10, vcc_lo
	v_cndmask_b32_e32 v0, v0, v9, vcc_lo
	v_and_b32_e32 v3, v1, v3
	v_and_b32_e32 v2, v0, v2
	v_mul_lo_u32 v3, v3, 24
	v_mul_hi_u32 v9, v2, 24
	v_mul_lo_u32 v2, v2, 24
	v_add_nc_u32_e32 v3, v9, v3
	s_waitcnt vmcnt(0)
	v_add_co_u32 v4, vcc_lo, v4, v2
	v_mov_b32_e32 v2, v7
	v_add_co_ci_u32_e32 v5, vcc_lo, v5, v3, vcc_lo
	v_mov_b32_e32 v3, v8
	global_store_dwordx2 v[4:5], v[7:8], off
	s_waitcnt_vscnt null, 0x0
	global_atomic_cmpswap_x2 v[2:3], v6, v[0:3], s[26:27] offset:24 glc
	s_waitcnt vmcnt(0)
	v_cmp_ne_u64_e32 vcc_lo, v[2:3], v[7:8]
	s_and_b32 exec_lo, exec_lo, vcc_lo
	s_cbranch_execz .LBB3_808
; %bb.806:
	s_mov_b32 s4, 0
.LBB3_807:                              ; =>This Inner Loop Header: Depth=1
	s_sleep 1
	global_store_dwordx2 v[4:5], v[2:3], off
	s_waitcnt_vscnt null, 0x0
	global_atomic_cmpswap_x2 v[7:8], v6, v[0:3], s[26:27] offset:24 glc
	s_waitcnt vmcnt(0)
	v_cmp_eq_u64_e32 vcc_lo, v[7:8], v[2:3]
	v_mov_b32_e32 v2, v7
	v_mov_b32_e32 v3, v8
	s_or_b32 s4, vcc_lo, s4
	s_andn2_b32 exec_lo, exec_lo, s4
	s_cbranch_execnz .LBB3_807
.LBB3_808:
	s_or_b32 exec_lo, exec_lo, s5
	v_readfirstlane_b32 s4, v50
	v_mov_b32_e32 v6, 0
	v_mov_b32_e32 v7, 0
	v_cmp_eq_u32_e64 s4, s4, v50
	s_and_saveexec_b32 s5, s4
	s_cbranch_execz .LBB3_814
; %bb.809:
	v_mov_b32_e32 v0, 0
	s_mov_b32 s6, exec_lo
	global_load_dwordx2 v[3:4], v0, s[26:27] offset:24 glc dlc
	s_waitcnt vmcnt(0)
	buffer_gl1_inv
	buffer_gl0_inv
	s_clause 0x1
	global_load_dwordx2 v[1:2], v0, s[26:27] offset:40
	global_load_dwordx2 v[5:6], v0, s[26:27]
	s_waitcnt vmcnt(1)
	v_and_b32_e32 v2, v2, v4
	v_and_b32_e32 v1, v1, v3
	v_mul_lo_u32 v2, v2, 24
	v_mul_hi_u32 v7, v1, 24
	v_mul_lo_u32 v1, v1, 24
	v_add_nc_u32_e32 v2, v7, v2
	s_waitcnt vmcnt(0)
	v_add_co_u32 v1, vcc_lo, v5, v1
	v_add_co_ci_u32_e32 v2, vcc_lo, v6, v2, vcc_lo
	global_load_dwordx2 v[1:2], v[1:2], off glc dlc
	s_waitcnt vmcnt(0)
	global_atomic_cmpswap_x2 v[6:7], v0, v[1:4], s[26:27] offset:24 glc
	s_waitcnt vmcnt(0)
	buffer_gl1_inv
	buffer_gl0_inv
	v_cmpx_ne_u64_e64 v[6:7], v[3:4]
	s_cbranch_execz .LBB3_813
; %bb.810:
	s_mov_b32 s7, 0
	.p2align	6
.LBB3_811:                              ; =>This Inner Loop Header: Depth=1
	s_sleep 1
	s_clause 0x1
	global_load_dwordx2 v[1:2], v0, s[26:27] offset:40
	global_load_dwordx2 v[8:9], v0, s[26:27]
	v_mov_b32_e32 v3, v6
	v_mov_b32_e32 v4, v7
	s_waitcnt vmcnt(1)
	v_and_b32_e32 v1, v1, v3
	v_and_b32_e32 v2, v2, v4
	s_waitcnt vmcnt(0)
	v_mad_u64_u32 v[5:6], null, v1, 24, v[8:9]
	v_mov_b32_e32 v1, v6
	v_mad_u64_u32 v[1:2], null, v2, 24, v[1:2]
	v_mov_b32_e32 v6, v1
	global_load_dwordx2 v[1:2], v[5:6], off glc dlc
	s_waitcnt vmcnt(0)
	global_atomic_cmpswap_x2 v[6:7], v0, v[1:4], s[26:27] offset:24 glc
	s_waitcnt vmcnt(0)
	buffer_gl1_inv
	buffer_gl0_inv
	v_cmp_eq_u64_e32 vcc_lo, v[6:7], v[3:4]
	s_or_b32 s7, vcc_lo, s7
	s_andn2_b32 exec_lo, exec_lo, s7
	s_cbranch_execnz .LBB3_811
; %bb.812:
	s_or_b32 exec_lo, exec_lo, s7
.LBB3_813:
	s_or_b32 exec_lo, exec_lo, s6
.LBB3_814:
	s_or_b32 exec_lo, exec_lo, s5
	v_mov_b32_e32 v5, 0
	v_readfirstlane_b32 s6, v6
	v_readfirstlane_b32 s7, v7
	s_mov_b32 s5, exec_lo
	s_clause 0x1
	global_load_dwordx2 v[8:9], v5, s[26:27] offset:40
	global_load_dwordx4 v[0:3], v5, s[26:27]
	s_waitcnt vmcnt(1)
	v_readfirstlane_b32 s10, v8
	v_readfirstlane_b32 s11, v9
	s_and_b64 s[10:11], s[6:7], s[10:11]
	s_mul_i32 s16, s11, 24
	s_mul_hi_u32 s17, s10, 24
	s_mul_i32 s18, s10, 24
	s_add_i32 s17, s17, s16
	s_waitcnt vmcnt(0)
	v_add_co_u32 v8, vcc_lo, v0, s18
	v_add_co_ci_u32_e32 v9, vcc_lo, s17, v1, vcc_lo
	s_and_saveexec_b32 s16, s4
	s_cbranch_execz .LBB3_816
; %bb.815:
	v_mov_b32_e32 v4, s5
	v_mov_b32_e32 v6, 2
	;; [unrolled: 1-line block ×3, first 2 shown]
	global_store_dwordx4 v[8:9], v[4:7], off offset:8
.LBB3_816:
	s_or_b32 exec_lo, exec_lo, s16
	s_lshl_b64 s[10:11], s[10:11], 12
	s_mov_b32 s16, 0
	v_add_co_u32 v2, vcc_lo, v2, s10
	v_add_co_ci_u32_e32 v3, vcc_lo, s11, v3, vcc_lo
	s_mov_b32 s17, s16
	v_add_co_u32 v10, vcc_lo, v2, v39
	s_mov_b32 s18, s16
	s_mov_b32 s19, s16
	v_mov_b32_e32 v4, 33
	v_mov_b32_e32 v6, v5
	;; [unrolled: 1-line block ×3, first 2 shown]
	v_readfirstlane_b32 s10, v2
	v_readfirstlane_b32 s11, v3
	v_mov_b32_e32 v12, s16
	v_add_co_ci_u32_e32 v11, vcc_lo, 0, v3, vcc_lo
	v_mov_b32_e32 v13, s17
	v_mov_b32_e32 v14, s18
	;; [unrolled: 1-line block ×3, first 2 shown]
	global_store_dwordx4 v39, v[4:7], s[10:11]
	global_store_dwordx4 v39, v[12:15], s[10:11] offset:16
	global_store_dwordx4 v39, v[12:15], s[10:11] offset:32
	;; [unrolled: 1-line block ×3, first 2 shown]
	s_and_saveexec_b32 s5, s4
	s_cbranch_execz .LBB3_824
; %bb.817:
	v_mov_b32_e32 v6, 0
	v_mov_b32_e32 v12, s6
	;; [unrolled: 1-line block ×3, first 2 shown]
	s_clause 0x1
	global_load_dwordx2 v[14:15], v6, s[26:27] offset:32 glc dlc
	global_load_dwordx2 v[2:3], v6, s[26:27] offset:40
	s_waitcnt vmcnt(0)
	v_readfirstlane_b32 s10, v2
	v_readfirstlane_b32 s11, v3
	s_and_b64 s[10:11], s[10:11], s[6:7]
	s_mul_i32 s11, s11, 24
	s_mul_hi_u32 s16, s10, 24
	s_mul_i32 s10, s10, 24
	s_add_i32 s16, s16, s11
	v_add_co_u32 v4, vcc_lo, v0, s10
	v_add_co_ci_u32_e32 v5, vcc_lo, s16, v1, vcc_lo
	s_mov_b32 s10, exec_lo
	global_store_dwordx2 v[4:5], v[14:15], off
	s_waitcnt_vscnt null, 0x0
	global_atomic_cmpswap_x2 v[2:3], v6, v[12:15], s[26:27] offset:32 glc
	s_waitcnt vmcnt(0)
	v_cmpx_ne_u64_e64 v[2:3], v[14:15]
	s_cbranch_execz .LBB3_820
; %bb.818:
	s_mov_b32 s11, 0
.LBB3_819:                              ; =>This Inner Loop Header: Depth=1
	v_mov_b32_e32 v0, s6
	v_mov_b32_e32 v1, s7
	s_sleep 1
	global_store_dwordx2 v[4:5], v[2:3], off
	s_waitcnt_vscnt null, 0x0
	global_atomic_cmpswap_x2 v[0:1], v6, v[0:3], s[26:27] offset:32 glc
	s_waitcnt vmcnt(0)
	v_cmp_eq_u64_e32 vcc_lo, v[0:1], v[2:3]
	v_mov_b32_e32 v3, v1
	v_mov_b32_e32 v2, v0
	s_or_b32 s11, vcc_lo, s11
	s_andn2_b32 exec_lo, exec_lo, s11
	s_cbranch_execnz .LBB3_819
.LBB3_820:
	s_or_b32 exec_lo, exec_lo, s10
	v_mov_b32_e32 v3, 0
	s_mov_b32 s11, exec_lo
	s_mov_b32 s10, exec_lo
	v_mbcnt_lo_u32_b32 v2, s11, 0
	global_load_dwordx2 v[0:1], v3, s[26:27] offset:16
	v_cmpx_eq_u32_e32 0, v2
	s_cbranch_execz .LBB3_822
; %bb.821:
	s_bcnt1_i32_b32 s11, s11
	v_mov_b32_e32 v2, s11
	s_waitcnt vmcnt(0)
	global_atomic_add_x2 v[0:1], v[2:3], off offset:8
.LBB3_822:
	s_or_b32 exec_lo, exec_lo, s10
	s_waitcnt vmcnt(0)
	global_load_dwordx2 v[2:3], v[0:1], off offset:16
	s_waitcnt vmcnt(0)
	v_cmp_eq_u64_e32 vcc_lo, 0, v[2:3]
	s_cbranch_vccnz .LBB3_824
; %bb.823:
	global_load_dword v0, v[0:1], off offset:24
	v_mov_b32_e32 v1, 0
	s_waitcnt vmcnt(0)
	v_and_b32_e32 v4, 0x7fffff, v0
	s_waitcnt_vscnt null, 0x0
	global_store_dwordx2 v[2:3], v[0:1], off
	v_readfirstlane_b32 m0, v4
	s_sendmsg sendmsg(MSG_INTERRUPT)
.LBB3_824:
	s_or_b32 exec_lo, exec_lo, s5
	s_branch .LBB3_828
	.p2align	6
.LBB3_825:                              ;   in Loop: Header=BB3_828 Depth=1
	s_or_b32 exec_lo, exec_lo, s5
	v_readfirstlane_b32 s5, v0
	s_cmp_eq_u32 s5, 0
	s_cbranch_scc1 .LBB3_827
; %bb.826:                              ;   in Loop: Header=BB3_828 Depth=1
	s_sleep 1
	s_cbranch_execnz .LBB3_828
	s_branch .LBB3_830
	.p2align	6
.LBB3_827:
	s_branch .LBB3_830
.LBB3_828:                              ; =>This Inner Loop Header: Depth=1
	v_mov_b32_e32 v0, 1
	s_and_saveexec_b32 s5, s4
	s_cbranch_execz .LBB3_825
; %bb.829:                              ;   in Loop: Header=BB3_828 Depth=1
	global_load_dword v0, v[8:9], off offset:20 glc dlc
	s_waitcnt vmcnt(0)
	buffer_gl1_inv
	buffer_gl0_inv
	v_and_b32_e32 v0, 1, v0
	s_branch .LBB3_825
.LBB3_830:
	global_load_dwordx2 v[0:1], v[10:11], off
	s_and_saveexec_b32 s5, s4
	s_cbranch_execz .LBB3_834
; %bb.831:
	v_mov_b32_e32 v8, 0
	s_clause 0x2
	global_load_dwordx2 v[4:5], v8, s[26:27] offset:40
	global_load_dwordx2 v[9:10], v8, s[26:27] offset:24 glc dlc
	global_load_dwordx2 v[6:7], v8, s[26:27]
	s_waitcnt vmcnt(2)
	v_add_co_u32 v11, vcc_lo, v4, 1
	v_add_co_ci_u32_e32 v12, vcc_lo, 0, v5, vcc_lo
	v_add_co_u32 v2, vcc_lo, v11, s6
	v_add_co_ci_u32_e32 v3, vcc_lo, s7, v12, vcc_lo
	v_cmp_eq_u64_e32 vcc_lo, 0, v[2:3]
	v_cndmask_b32_e32 v3, v3, v12, vcc_lo
	v_cndmask_b32_e32 v2, v2, v11, vcc_lo
	v_and_b32_e32 v5, v3, v5
	v_and_b32_e32 v4, v2, v4
	v_mul_lo_u32 v5, v5, 24
	v_mul_hi_u32 v11, v4, 24
	v_mul_lo_u32 v4, v4, 24
	v_add_nc_u32_e32 v5, v11, v5
	s_waitcnt vmcnt(0)
	v_add_co_u32 v6, vcc_lo, v6, v4
	v_mov_b32_e32 v4, v9
	v_add_co_ci_u32_e32 v7, vcc_lo, v7, v5, vcc_lo
	v_mov_b32_e32 v5, v10
	global_store_dwordx2 v[6:7], v[9:10], off
	s_waitcnt_vscnt null, 0x0
	global_atomic_cmpswap_x2 v[4:5], v8, v[2:5], s[26:27] offset:24 glc
	s_waitcnt vmcnt(0)
	v_cmp_ne_u64_e32 vcc_lo, v[4:5], v[9:10]
	s_and_b32 exec_lo, exec_lo, vcc_lo
	s_cbranch_execz .LBB3_834
; %bb.832:
	s_mov_b32 s4, 0
.LBB3_833:                              ; =>This Inner Loop Header: Depth=1
	s_sleep 1
	global_store_dwordx2 v[6:7], v[4:5], off
	s_waitcnt_vscnt null, 0x0
	global_atomic_cmpswap_x2 v[9:10], v8, v[2:5], s[26:27] offset:24 glc
	s_waitcnt vmcnt(0)
	v_cmp_eq_u64_e32 vcc_lo, v[9:10], v[4:5]
	v_mov_b32_e32 v4, v9
	v_mov_b32_e32 v5, v10
	s_or_b32 s4, vcc_lo, s4
	s_andn2_b32 exec_lo, exec_lo, s4
	s_cbranch_execnz .LBB3_833
.LBB3_834:
	s_or_b32 exec_lo, exec_lo, s5
	s_getpc_b64 s[6:7]
	s_add_u32 s6, s6, .str.7@rel32@lo+4
	s_addc_u32 s7, s7, .str.7@rel32@hi+12
	s_cmp_lg_u64 s[6:7], 0
	s_cbranch_scc0 .LBB3_913
; %bb.835:
	s_waitcnt vmcnt(0)
	v_and_b32_e32 v31, 2, v0
	v_mov_b32_e32 v6, 0
	v_and_b32_e32 v2, -3, v0
	v_mov_b32_e32 v3, v1
	v_mov_b32_e32 v7, 2
	;; [unrolled: 1-line block ×3, first 2 shown]
	s_mov_b64 s[10:11], 4
	s_branch .LBB3_837
.LBB3_836:                              ;   in Loop: Header=BB3_837 Depth=1
	s_or_b32 exec_lo, exec_lo, s5
	s_sub_u32 s10, s10, s16
	s_subb_u32 s11, s11, s17
	s_add_u32 s6, s6, s16
	s_addc_u32 s7, s7, s17
	s_cmp_lg_u64 s[10:11], 0
	s_cbranch_scc0 .LBB3_912
.LBB3_837:                              ; =>This Loop Header: Depth=1
                                        ;     Child Loop BB3_846 Depth 2
                                        ;     Child Loop BB3_842 Depth 2
	;; [unrolled: 1-line block ×11, first 2 shown]
	v_cmp_lt_u64_e64 s4, s[10:11], 56
	v_cmp_gt_u64_e64 s5, s[10:11], 7
                                        ; implicit-def: $vgpr11_vgpr12
                                        ; implicit-def: $sgpr22
	s_and_b32 s4, s4, exec_lo
	s_cselect_b32 s17, s11, 0
	s_cselect_b32 s16, s10, 56
	s_and_b32 vcc_lo, exec_lo, s5
	s_mov_b32 s4, -1
	s_cbranch_vccz .LBB3_844
; %bb.838:                              ;   in Loop: Header=BB3_837 Depth=1
	s_andn2_b32 vcc_lo, exec_lo, s4
	s_mov_b64 s[4:5], s[6:7]
	s_cbranch_vccz .LBB3_848
.LBB3_839:                              ;   in Loop: Header=BB3_837 Depth=1
	s_cmp_gt_u32 s22, 7
	s_cbranch_scc1 .LBB3_849
.LBB3_840:                              ;   in Loop: Header=BB3_837 Depth=1
	v_mov_b32_e32 v13, 0
	v_mov_b32_e32 v14, 0
	s_cmp_eq_u32 s22, 0
	s_cbranch_scc1 .LBB3_843
; %bb.841:                              ;   in Loop: Header=BB3_837 Depth=1
	s_mov_b64 s[18:19], 0
	s_mov_b64 s[20:21], 0
.LBB3_842:                              ;   Parent Loop BB3_837 Depth=1
                                        ; =>  This Inner Loop Header: Depth=2
	s_add_u32 s24, s4, s20
	s_addc_u32 s25, s5, s21
	s_add_u32 s20, s20, 1
	global_load_ubyte v4, v6, s[24:25]
	s_addc_u32 s21, s21, 0
	s_waitcnt vmcnt(0)
	v_and_b32_e32 v5, 0xffff, v4
	v_lshlrev_b64 v[4:5], s18, v[5:6]
	s_add_u32 s18, s18, 8
	s_addc_u32 s19, s19, 0
	s_cmp_lg_u32 s22, s20
	v_or_b32_e32 v13, v4, v13
	v_or_b32_e32 v14, v5, v14
	s_cbranch_scc1 .LBB3_842
.LBB3_843:                              ;   in Loop: Header=BB3_837 Depth=1
	s_mov_b32 s23, 0
	s_cbranch_execz .LBB3_850
	s_branch .LBB3_851
.LBB3_844:                              ;   in Loop: Header=BB3_837 Depth=1
	v_mov_b32_e32 v11, 0
	v_mov_b32_e32 v12, 0
	s_cmp_eq_u64 s[10:11], 0
	s_mov_b64 s[4:5], 0
	s_cbranch_scc1 .LBB3_847
; %bb.845:                              ;   in Loop: Header=BB3_837 Depth=1
	v_mov_b32_e32 v11, 0
	v_mov_b32_e32 v12, 0
	s_lshl_b64 s[18:19], s[16:17], 3
	s_mov_b64 s[20:21], s[6:7]
.LBB3_846:                              ;   Parent Loop BB3_837 Depth=1
                                        ; =>  This Inner Loop Header: Depth=2
	global_load_ubyte v4, v6, s[20:21]
	s_waitcnt vmcnt(0)
	v_and_b32_e32 v5, 0xffff, v4
	v_lshlrev_b64 v[4:5], s4, v[5:6]
	s_add_u32 s4, s4, 8
	s_addc_u32 s5, s5, 0
	s_add_u32 s20, s20, 1
	s_addc_u32 s21, s21, 0
	s_cmp_lg_u32 s18, s4
	v_or_b32_e32 v11, v4, v11
	v_or_b32_e32 v12, v5, v12
	s_cbranch_scc1 .LBB3_846
.LBB3_847:                              ;   in Loop: Header=BB3_837 Depth=1
	s_mov_b32 s22, 0
	s_mov_b64 s[4:5], s[6:7]
	s_cbranch_execnz .LBB3_839
.LBB3_848:                              ;   in Loop: Header=BB3_837 Depth=1
	global_load_dwordx2 v[11:12], v6, s[6:7]
	s_add_i32 s22, s16, -8
	s_add_u32 s4, s6, 8
	s_addc_u32 s5, s7, 0
	s_cmp_gt_u32 s22, 7
	s_cbranch_scc0 .LBB3_840
.LBB3_849:                              ;   in Loop: Header=BB3_837 Depth=1
                                        ; implicit-def: $vgpr13_vgpr14
                                        ; implicit-def: $sgpr23
.LBB3_850:                              ;   in Loop: Header=BB3_837 Depth=1
	global_load_dwordx2 v[13:14], v6, s[4:5]
	s_add_i32 s23, s22, -8
	s_add_u32 s4, s4, 8
	s_addc_u32 s5, s5, 0
.LBB3_851:                              ;   in Loop: Header=BB3_837 Depth=1
	s_cmp_gt_u32 s23, 7
	s_cbranch_scc1 .LBB3_856
; %bb.852:                              ;   in Loop: Header=BB3_837 Depth=1
	v_mov_b32_e32 v15, 0
	v_mov_b32_e32 v16, 0
	s_cmp_eq_u32 s23, 0
	s_cbranch_scc1 .LBB3_855
; %bb.853:                              ;   in Loop: Header=BB3_837 Depth=1
	s_mov_b64 s[18:19], 0
	s_mov_b64 s[20:21], 0
.LBB3_854:                              ;   Parent Loop BB3_837 Depth=1
                                        ; =>  This Inner Loop Header: Depth=2
	s_add_u32 s24, s4, s20
	s_addc_u32 s25, s5, s21
	s_add_u32 s20, s20, 1
	global_load_ubyte v4, v6, s[24:25]
	s_addc_u32 s21, s21, 0
	s_waitcnt vmcnt(0)
	v_and_b32_e32 v5, 0xffff, v4
	v_lshlrev_b64 v[4:5], s18, v[5:6]
	s_add_u32 s18, s18, 8
	s_addc_u32 s19, s19, 0
	s_cmp_lg_u32 s23, s20
	v_or_b32_e32 v15, v4, v15
	v_or_b32_e32 v16, v5, v16
	s_cbranch_scc1 .LBB3_854
.LBB3_855:                              ;   in Loop: Header=BB3_837 Depth=1
	s_mov_b32 s22, 0
	s_cbranch_execz .LBB3_857
	s_branch .LBB3_858
.LBB3_856:                              ;   in Loop: Header=BB3_837 Depth=1
                                        ; implicit-def: $sgpr22
.LBB3_857:                              ;   in Loop: Header=BB3_837 Depth=1
	global_load_dwordx2 v[15:16], v6, s[4:5]
	s_add_i32 s22, s23, -8
	s_add_u32 s4, s4, 8
	s_addc_u32 s5, s5, 0
.LBB3_858:                              ;   in Loop: Header=BB3_837 Depth=1
	s_cmp_gt_u32 s22, 7
	s_cbranch_scc1 .LBB3_863
; %bb.859:                              ;   in Loop: Header=BB3_837 Depth=1
	v_mov_b32_e32 v17, 0
	v_mov_b32_e32 v18, 0
	s_cmp_eq_u32 s22, 0
	s_cbranch_scc1 .LBB3_862
; %bb.860:                              ;   in Loop: Header=BB3_837 Depth=1
	s_mov_b64 s[18:19], 0
	s_mov_b64 s[20:21], 0
.LBB3_861:                              ;   Parent Loop BB3_837 Depth=1
                                        ; =>  This Inner Loop Header: Depth=2
	s_add_u32 s24, s4, s20
	s_addc_u32 s25, s5, s21
	s_add_u32 s20, s20, 1
	global_load_ubyte v4, v6, s[24:25]
	s_addc_u32 s21, s21, 0
	s_waitcnt vmcnt(0)
	v_and_b32_e32 v5, 0xffff, v4
	v_lshlrev_b64 v[4:5], s18, v[5:6]
	s_add_u32 s18, s18, 8
	s_addc_u32 s19, s19, 0
	s_cmp_lg_u32 s22, s20
	v_or_b32_e32 v17, v4, v17
	v_or_b32_e32 v18, v5, v18
	s_cbranch_scc1 .LBB3_861
.LBB3_862:                              ;   in Loop: Header=BB3_837 Depth=1
	s_mov_b32 s23, 0
	s_cbranch_execz .LBB3_864
	s_branch .LBB3_865
.LBB3_863:                              ;   in Loop: Header=BB3_837 Depth=1
                                        ; implicit-def: $vgpr17_vgpr18
                                        ; implicit-def: $sgpr23
.LBB3_864:                              ;   in Loop: Header=BB3_837 Depth=1
	global_load_dwordx2 v[17:18], v6, s[4:5]
	s_add_i32 s23, s22, -8
	s_add_u32 s4, s4, 8
	s_addc_u32 s5, s5, 0
.LBB3_865:                              ;   in Loop: Header=BB3_837 Depth=1
	s_cmp_gt_u32 s23, 7
	s_cbranch_scc1 .LBB3_870
; %bb.866:                              ;   in Loop: Header=BB3_837 Depth=1
	v_mov_b32_e32 v19, 0
	v_mov_b32_e32 v20, 0
	s_cmp_eq_u32 s23, 0
	s_cbranch_scc1 .LBB3_869
; %bb.867:                              ;   in Loop: Header=BB3_837 Depth=1
	s_mov_b64 s[18:19], 0
	s_mov_b64 s[20:21], 0
.LBB3_868:                              ;   Parent Loop BB3_837 Depth=1
                                        ; =>  This Inner Loop Header: Depth=2
	s_add_u32 s24, s4, s20
	s_addc_u32 s25, s5, s21
	s_add_u32 s20, s20, 1
	global_load_ubyte v4, v6, s[24:25]
	s_addc_u32 s21, s21, 0
	s_waitcnt vmcnt(0)
	v_and_b32_e32 v5, 0xffff, v4
	v_lshlrev_b64 v[4:5], s18, v[5:6]
	s_add_u32 s18, s18, 8
	s_addc_u32 s19, s19, 0
	s_cmp_lg_u32 s23, s20
	v_or_b32_e32 v19, v4, v19
	v_or_b32_e32 v20, v5, v20
	s_cbranch_scc1 .LBB3_868
.LBB3_869:                              ;   in Loop: Header=BB3_837 Depth=1
	s_mov_b32 s22, 0
	s_cbranch_execz .LBB3_871
	s_branch .LBB3_872
.LBB3_870:                              ;   in Loop: Header=BB3_837 Depth=1
                                        ; implicit-def: $sgpr22
.LBB3_871:                              ;   in Loop: Header=BB3_837 Depth=1
	global_load_dwordx2 v[19:20], v6, s[4:5]
	s_add_i32 s22, s23, -8
	s_add_u32 s4, s4, 8
	s_addc_u32 s5, s5, 0
.LBB3_872:                              ;   in Loop: Header=BB3_837 Depth=1
	s_cmp_gt_u32 s22, 7
	s_cbranch_scc1 .LBB3_877
; %bb.873:                              ;   in Loop: Header=BB3_837 Depth=1
	v_mov_b32_e32 v21, 0
	v_mov_b32_e32 v22, 0
	s_cmp_eq_u32 s22, 0
	s_cbranch_scc1 .LBB3_876
; %bb.874:                              ;   in Loop: Header=BB3_837 Depth=1
	s_mov_b64 s[18:19], 0
	s_mov_b64 s[20:21], 0
.LBB3_875:                              ;   Parent Loop BB3_837 Depth=1
                                        ; =>  This Inner Loop Header: Depth=2
	s_add_u32 s24, s4, s20
	s_addc_u32 s25, s5, s21
	s_add_u32 s20, s20, 1
	global_load_ubyte v4, v6, s[24:25]
	s_addc_u32 s21, s21, 0
	s_waitcnt vmcnt(0)
	v_and_b32_e32 v5, 0xffff, v4
	v_lshlrev_b64 v[4:5], s18, v[5:6]
	s_add_u32 s18, s18, 8
	s_addc_u32 s19, s19, 0
	s_cmp_lg_u32 s22, s20
	v_or_b32_e32 v21, v4, v21
	v_or_b32_e32 v22, v5, v22
	s_cbranch_scc1 .LBB3_875
.LBB3_876:                              ;   in Loop: Header=BB3_837 Depth=1
	s_mov_b32 s23, 0
	s_cbranch_execz .LBB3_878
	s_branch .LBB3_879
.LBB3_877:                              ;   in Loop: Header=BB3_837 Depth=1
                                        ; implicit-def: $vgpr21_vgpr22
                                        ; implicit-def: $sgpr23
.LBB3_878:                              ;   in Loop: Header=BB3_837 Depth=1
	global_load_dwordx2 v[21:22], v6, s[4:5]
	s_add_i32 s23, s22, -8
	s_add_u32 s4, s4, 8
	s_addc_u32 s5, s5, 0
.LBB3_879:                              ;   in Loop: Header=BB3_837 Depth=1
	s_cmp_gt_u32 s23, 7
	s_cbranch_scc1 .LBB3_884
; %bb.880:                              ;   in Loop: Header=BB3_837 Depth=1
	v_mov_b32_e32 v23, 0
	v_mov_b32_e32 v24, 0
	s_cmp_eq_u32 s23, 0
	s_cbranch_scc1 .LBB3_883
; %bb.881:                              ;   in Loop: Header=BB3_837 Depth=1
	s_mov_b64 s[18:19], 0
	s_mov_b64 s[20:21], s[4:5]
.LBB3_882:                              ;   Parent Loop BB3_837 Depth=1
                                        ; =>  This Inner Loop Header: Depth=2
	global_load_ubyte v4, v6, s[20:21]
	s_add_i32 s23, s23, -1
	s_waitcnt vmcnt(0)
	v_and_b32_e32 v5, 0xffff, v4
	v_lshlrev_b64 v[4:5], s18, v[5:6]
	s_add_u32 s18, s18, 8
	s_addc_u32 s19, s19, 0
	s_add_u32 s20, s20, 1
	s_addc_u32 s21, s21, 0
	s_cmp_lg_u32 s23, 0
	v_or_b32_e32 v23, v4, v23
	v_or_b32_e32 v24, v5, v24
	s_cbranch_scc1 .LBB3_882
.LBB3_883:                              ;   in Loop: Header=BB3_837 Depth=1
	s_cbranch_execz .LBB3_885
	s_branch .LBB3_886
.LBB3_884:                              ;   in Loop: Header=BB3_837 Depth=1
.LBB3_885:                              ;   in Loop: Header=BB3_837 Depth=1
	global_load_dwordx2 v[23:24], v6, s[4:5]
.LBB3_886:                              ;   in Loop: Header=BB3_837 Depth=1
	v_readfirstlane_b32 s4, v50
	s_waitcnt vmcnt(0)
	v_mov_b32_e32 v4, 0
	v_mov_b32_e32 v5, 0
	v_cmp_eq_u32_e64 s4, s4, v50
	s_and_saveexec_b32 s5, s4
	s_cbranch_execz .LBB3_892
; %bb.887:                              ;   in Loop: Header=BB3_837 Depth=1
	global_load_dwordx2 v[27:28], v6, s[26:27] offset:24 glc dlc
	s_waitcnt vmcnt(0)
	buffer_gl1_inv
	buffer_gl0_inv
	s_clause 0x1
	global_load_dwordx2 v[4:5], v6, s[26:27] offset:40
	global_load_dwordx2 v[9:10], v6, s[26:27]
	s_mov_b32 s18, exec_lo
	s_waitcnt vmcnt(1)
	v_and_b32_e32 v5, v5, v28
	v_and_b32_e32 v4, v4, v27
	v_mul_lo_u32 v5, v5, 24
	v_mul_hi_u32 v25, v4, 24
	v_mul_lo_u32 v4, v4, 24
	v_add_nc_u32_e32 v5, v25, v5
	s_waitcnt vmcnt(0)
	v_add_co_u32 v4, vcc_lo, v9, v4
	v_add_co_ci_u32_e32 v5, vcc_lo, v10, v5, vcc_lo
	global_load_dwordx2 v[25:26], v[4:5], off glc dlc
	s_waitcnt vmcnt(0)
	global_atomic_cmpswap_x2 v[4:5], v6, v[25:28], s[26:27] offset:24 glc
	s_waitcnt vmcnt(0)
	buffer_gl1_inv
	buffer_gl0_inv
	v_cmpx_ne_u64_e64 v[4:5], v[27:28]
	s_cbranch_execz .LBB3_891
; %bb.888:                              ;   in Loop: Header=BB3_837 Depth=1
	s_mov_b32 s19, 0
	.p2align	6
.LBB3_889:                              ;   Parent Loop BB3_837 Depth=1
                                        ; =>  This Inner Loop Header: Depth=2
	s_sleep 1
	s_clause 0x1
	global_load_dwordx2 v[9:10], v6, s[26:27] offset:40
	global_load_dwordx2 v[25:26], v6, s[26:27]
	v_mov_b32_e32 v28, v5
	v_mov_b32_e32 v27, v4
	s_waitcnt vmcnt(1)
	v_and_b32_e32 v4, v9, v27
	v_and_b32_e32 v9, v10, v28
	s_waitcnt vmcnt(0)
	v_mad_u64_u32 v[4:5], null, v4, 24, v[25:26]
	v_mad_u64_u32 v[9:10], null, v9, 24, v[5:6]
	v_mov_b32_e32 v5, v9
	global_load_dwordx2 v[25:26], v[4:5], off glc dlc
	s_waitcnt vmcnt(0)
	global_atomic_cmpswap_x2 v[4:5], v6, v[25:28], s[26:27] offset:24 glc
	s_waitcnt vmcnt(0)
	buffer_gl1_inv
	buffer_gl0_inv
	v_cmp_eq_u64_e32 vcc_lo, v[4:5], v[27:28]
	s_or_b32 s19, vcc_lo, s19
	s_andn2_b32 exec_lo, exec_lo, s19
	s_cbranch_execnz .LBB3_889
; %bb.890:                              ;   in Loop: Header=BB3_837 Depth=1
	s_or_b32 exec_lo, exec_lo, s19
.LBB3_891:                              ;   in Loop: Header=BB3_837 Depth=1
	s_or_b32 exec_lo, exec_lo, s18
.LBB3_892:                              ;   in Loop: Header=BB3_837 Depth=1
	s_or_b32 exec_lo, exec_lo, s5
	s_clause 0x1
	global_load_dwordx2 v[9:10], v6, s[26:27] offset:40
	global_load_dwordx4 v[25:28], v6, s[26:27]
	v_readfirstlane_b32 s18, v4
	v_readfirstlane_b32 s19, v5
	s_mov_b32 s5, exec_lo
	s_waitcnt vmcnt(1)
	v_readfirstlane_b32 s20, v9
	v_readfirstlane_b32 s21, v10
	s_and_b64 s[20:21], s[18:19], s[20:21]
	s_mul_i32 s22, s21, 24
	s_mul_hi_u32 s23, s20, 24
	s_mul_i32 s24, s20, 24
	s_add_i32 s23, s23, s22
	s_waitcnt vmcnt(0)
	v_add_co_u32 v29, vcc_lo, v25, s24
	v_add_co_ci_u32_e32 v30, vcc_lo, s23, v26, vcc_lo
	s_and_saveexec_b32 s22, s4
	s_cbranch_execz .LBB3_894
; %bb.893:                              ;   in Loop: Header=BB3_837 Depth=1
	v_mov_b32_e32 v5, s5
	global_store_dwordx4 v[29:30], v[5:8], off offset:8
.LBB3_894:                              ;   in Loop: Header=BB3_837 Depth=1
	s_or_b32 exec_lo, exec_lo, s22
	s_lshl_b64 s[20:21], s[20:21], 12
	v_cmp_gt_u64_e64 vcc_lo, s[10:11], 56
	v_or_b32_e32 v5, v2, v31
	v_add_co_u32 v27, s5, v27, s20
	v_add_co_ci_u32_e64 v28, s5, s21, v28, s5
	s_lshl_b32 s5, s16, 2
	v_or_b32_e32 v4, 0, v3
	v_cndmask_b32_e32 v2, v5, v2, vcc_lo
	s_add_i32 s5, s5, 28
	v_readfirstlane_b32 s20, v27
	s_and_b32 s5, s5, 0x1e0
	v_cndmask_b32_e32 v10, v4, v3, vcc_lo
	v_readfirstlane_b32 s21, v28
	v_and_or_b32 v9, 0xffffff1f, v2, s5
	global_store_dwordx4 v39, v[9:12], s[20:21]
	global_store_dwordx4 v39, v[13:16], s[20:21] offset:16
	global_store_dwordx4 v39, v[17:20], s[20:21] offset:32
	;; [unrolled: 1-line block ×3, first 2 shown]
	s_and_saveexec_b32 s5, s4
	s_cbranch_execz .LBB3_902
; %bb.895:                              ;   in Loop: Header=BB3_837 Depth=1
	s_clause 0x1
	global_load_dwordx2 v[13:14], v6, s[26:27] offset:32 glc dlc
	global_load_dwordx2 v[2:3], v6, s[26:27] offset:40
	v_mov_b32_e32 v11, s18
	v_mov_b32_e32 v12, s19
	s_waitcnt vmcnt(0)
	v_readfirstlane_b32 s20, v2
	v_readfirstlane_b32 s21, v3
	s_and_b64 s[20:21], s[20:21], s[18:19]
	s_mul_i32 s21, s21, 24
	s_mul_hi_u32 s22, s20, 24
	s_mul_i32 s20, s20, 24
	s_add_i32 s22, s22, s21
	v_add_co_u32 v9, vcc_lo, v25, s20
	v_add_co_ci_u32_e32 v10, vcc_lo, s22, v26, vcc_lo
	s_mov_b32 s20, exec_lo
	global_store_dwordx2 v[9:10], v[13:14], off
	s_waitcnt_vscnt null, 0x0
	global_atomic_cmpswap_x2 v[4:5], v6, v[11:14], s[26:27] offset:32 glc
	s_waitcnt vmcnt(0)
	v_cmpx_ne_u64_e64 v[4:5], v[13:14]
	s_cbranch_execz .LBB3_898
; %bb.896:                              ;   in Loop: Header=BB3_837 Depth=1
	s_mov_b32 s21, 0
.LBB3_897:                              ;   Parent Loop BB3_837 Depth=1
                                        ; =>  This Inner Loop Header: Depth=2
	v_mov_b32_e32 v2, s18
	v_mov_b32_e32 v3, s19
	s_sleep 1
	global_store_dwordx2 v[9:10], v[4:5], off
	s_waitcnt_vscnt null, 0x0
	global_atomic_cmpswap_x2 v[2:3], v6, v[2:5], s[26:27] offset:32 glc
	s_waitcnt vmcnt(0)
	v_cmp_eq_u64_e32 vcc_lo, v[2:3], v[4:5]
	v_mov_b32_e32 v5, v3
	v_mov_b32_e32 v4, v2
	s_or_b32 s21, vcc_lo, s21
	s_andn2_b32 exec_lo, exec_lo, s21
	s_cbranch_execnz .LBB3_897
.LBB3_898:                              ;   in Loop: Header=BB3_837 Depth=1
	s_or_b32 exec_lo, exec_lo, s20
	global_load_dwordx2 v[2:3], v6, s[26:27] offset:16
	s_mov_b32 s21, exec_lo
	s_mov_b32 s20, exec_lo
	v_mbcnt_lo_u32_b32 v4, s21, 0
	v_cmpx_eq_u32_e32 0, v4
	s_cbranch_execz .LBB3_900
; %bb.899:                              ;   in Loop: Header=BB3_837 Depth=1
	s_bcnt1_i32_b32 s21, s21
	v_mov_b32_e32 v5, s21
	s_waitcnt vmcnt(0)
	global_atomic_add_x2 v[2:3], v[5:6], off offset:8
.LBB3_900:                              ;   in Loop: Header=BB3_837 Depth=1
	s_or_b32 exec_lo, exec_lo, s20
	s_waitcnt vmcnt(0)
	global_load_dwordx2 v[9:10], v[2:3], off offset:16
	s_waitcnt vmcnt(0)
	v_cmp_eq_u64_e32 vcc_lo, 0, v[9:10]
	s_cbranch_vccnz .LBB3_902
; %bb.901:                              ;   in Loop: Header=BB3_837 Depth=1
	global_load_dword v5, v[2:3], off offset:24
	s_waitcnt vmcnt(0)
	v_and_b32_e32 v2, 0x7fffff, v5
	s_waitcnt_vscnt null, 0x0
	global_store_dwordx2 v[9:10], v[5:6], off
	v_readfirstlane_b32 m0, v2
	s_sendmsg sendmsg(MSG_INTERRUPT)
.LBB3_902:                              ;   in Loop: Header=BB3_837 Depth=1
	s_or_b32 exec_lo, exec_lo, s5
	v_add_co_u32 v2, vcc_lo, v27, v39
	v_add_co_ci_u32_e32 v3, vcc_lo, 0, v28, vcc_lo
	s_branch .LBB3_906
	.p2align	6
.LBB3_903:                              ;   in Loop: Header=BB3_906 Depth=2
	s_or_b32 exec_lo, exec_lo, s5
	v_readfirstlane_b32 s5, v4
	s_cmp_eq_u32 s5, 0
	s_cbranch_scc1 .LBB3_905
; %bb.904:                              ;   in Loop: Header=BB3_906 Depth=2
	s_sleep 1
	s_cbranch_execnz .LBB3_906
	s_branch .LBB3_908
	.p2align	6
.LBB3_905:                              ;   in Loop: Header=BB3_837 Depth=1
	s_branch .LBB3_908
.LBB3_906:                              ;   Parent Loop BB3_837 Depth=1
                                        ; =>  This Inner Loop Header: Depth=2
	v_mov_b32_e32 v4, 1
	s_and_saveexec_b32 s5, s4
	s_cbranch_execz .LBB3_903
; %bb.907:                              ;   in Loop: Header=BB3_906 Depth=2
	global_load_dword v4, v[29:30], off offset:20 glc dlc
	s_waitcnt vmcnt(0)
	buffer_gl1_inv
	buffer_gl0_inv
	v_and_b32_e32 v4, 1, v4
	s_branch .LBB3_903
.LBB3_908:                              ;   in Loop: Header=BB3_837 Depth=1
	global_load_dwordx4 v[2:5], v[2:3], off
	s_and_saveexec_b32 s5, s4
	s_cbranch_execz .LBB3_836
; %bb.909:                              ;   in Loop: Header=BB3_837 Depth=1
	s_clause 0x2
	global_load_dwordx2 v[4:5], v6, s[26:27] offset:40
	global_load_dwordx2 v[13:14], v6, s[26:27] offset:24 glc dlc
	global_load_dwordx2 v[11:12], v6, s[26:27]
	s_waitcnt vmcnt(2)
	v_add_co_u32 v15, vcc_lo, v4, 1
	v_add_co_ci_u32_e32 v16, vcc_lo, 0, v5, vcc_lo
	v_add_co_u32 v9, vcc_lo, v15, s18
	v_add_co_ci_u32_e32 v10, vcc_lo, s19, v16, vcc_lo
	v_cmp_eq_u64_e32 vcc_lo, 0, v[9:10]
	v_cndmask_b32_e32 v10, v10, v16, vcc_lo
	v_cndmask_b32_e32 v9, v9, v15, vcc_lo
	v_and_b32_e32 v5, v10, v5
	v_and_b32_e32 v4, v9, v4
	v_mul_lo_u32 v5, v5, 24
	v_mul_hi_u32 v15, v4, 24
	v_mul_lo_u32 v4, v4, 24
	v_add_nc_u32_e32 v5, v15, v5
	s_waitcnt vmcnt(0)
	v_add_co_u32 v4, vcc_lo, v11, v4
	v_mov_b32_e32 v11, v13
	v_add_co_ci_u32_e32 v5, vcc_lo, v12, v5, vcc_lo
	v_mov_b32_e32 v12, v14
	global_store_dwordx2 v[4:5], v[13:14], off
	s_waitcnt_vscnt null, 0x0
	global_atomic_cmpswap_x2 v[11:12], v6, v[9:12], s[26:27] offset:24 glc
	s_waitcnt vmcnt(0)
	v_cmp_ne_u64_e32 vcc_lo, v[11:12], v[13:14]
	s_and_b32 exec_lo, exec_lo, vcc_lo
	s_cbranch_execz .LBB3_836
; %bb.910:                              ;   in Loop: Header=BB3_837 Depth=1
	s_mov_b32 s4, 0
.LBB3_911:                              ;   Parent Loop BB3_837 Depth=1
                                        ; =>  This Inner Loop Header: Depth=2
	s_sleep 1
	global_store_dwordx2 v[4:5], v[11:12], off
	s_waitcnt_vscnt null, 0x0
	global_atomic_cmpswap_x2 v[13:14], v6, v[9:12], s[26:27] offset:24 glc
	s_waitcnt vmcnt(0)
	v_cmp_eq_u64_e32 vcc_lo, v[13:14], v[11:12]
	v_mov_b32_e32 v11, v13
	v_mov_b32_e32 v12, v14
	s_or_b32 s4, vcc_lo, s4
	s_andn2_b32 exec_lo, exec_lo, s4
	s_cbranch_execnz .LBB3_911
	s_branch .LBB3_836
.LBB3_912:
	s_branch .LBB3_941
.LBB3_913:
                                        ; implicit-def: $vgpr2_vgpr3
	s_cbranch_execz .LBB3_941
; %bb.914:
	v_readfirstlane_b32 s4, v50
	v_mov_b32_e32 v8, 0
	v_mov_b32_e32 v9, 0
	v_cmp_eq_u32_e64 s4, s4, v50
	s_and_saveexec_b32 s5, s4
	s_cbranch_execz .LBB3_920
; %bb.915:
	s_waitcnt vmcnt(0)
	v_mov_b32_e32 v2, 0
	s_mov_b32 s6, exec_lo
	global_load_dwordx2 v[5:6], v2, s[26:27] offset:24 glc dlc
	s_waitcnt vmcnt(0)
	buffer_gl1_inv
	buffer_gl0_inv
	s_clause 0x1
	global_load_dwordx2 v[3:4], v2, s[26:27] offset:40
	global_load_dwordx2 v[7:8], v2, s[26:27]
	s_waitcnt vmcnt(1)
	v_and_b32_e32 v4, v4, v6
	v_and_b32_e32 v3, v3, v5
	v_mul_lo_u32 v4, v4, 24
	v_mul_hi_u32 v9, v3, 24
	v_mul_lo_u32 v3, v3, 24
	v_add_nc_u32_e32 v4, v9, v4
	s_waitcnt vmcnt(0)
	v_add_co_u32 v3, vcc_lo, v7, v3
	v_add_co_ci_u32_e32 v4, vcc_lo, v8, v4, vcc_lo
	global_load_dwordx2 v[3:4], v[3:4], off glc dlc
	s_waitcnt vmcnt(0)
	global_atomic_cmpswap_x2 v[8:9], v2, v[3:6], s[26:27] offset:24 glc
	s_waitcnt vmcnt(0)
	buffer_gl1_inv
	buffer_gl0_inv
	v_cmpx_ne_u64_e64 v[8:9], v[5:6]
	s_cbranch_execz .LBB3_919
; %bb.916:
	s_mov_b32 s7, 0
	.p2align	6
.LBB3_917:                              ; =>This Inner Loop Header: Depth=1
	s_sleep 1
	s_clause 0x1
	global_load_dwordx2 v[3:4], v2, s[26:27] offset:40
	global_load_dwordx2 v[10:11], v2, s[26:27]
	v_mov_b32_e32 v5, v8
	v_mov_b32_e32 v6, v9
	s_waitcnt vmcnt(1)
	v_and_b32_e32 v3, v3, v5
	v_and_b32_e32 v4, v4, v6
	s_waitcnt vmcnt(0)
	v_mad_u64_u32 v[7:8], null, v3, 24, v[10:11]
	v_mov_b32_e32 v3, v8
	v_mad_u64_u32 v[3:4], null, v4, 24, v[3:4]
	v_mov_b32_e32 v8, v3
	global_load_dwordx2 v[3:4], v[7:8], off glc dlc
	s_waitcnt vmcnt(0)
	global_atomic_cmpswap_x2 v[8:9], v2, v[3:6], s[26:27] offset:24 glc
	s_waitcnt vmcnt(0)
	buffer_gl1_inv
	buffer_gl0_inv
	v_cmp_eq_u64_e32 vcc_lo, v[8:9], v[5:6]
	s_or_b32 s7, vcc_lo, s7
	s_andn2_b32 exec_lo, exec_lo, s7
	s_cbranch_execnz .LBB3_917
; %bb.918:
	s_or_b32 exec_lo, exec_lo, s7
.LBB3_919:
	s_or_b32 exec_lo, exec_lo, s6
.LBB3_920:
	s_or_b32 exec_lo, exec_lo, s5
	s_waitcnt vmcnt(0)
	v_mov_b32_e32 v2, 0
	v_readfirstlane_b32 s6, v8
	v_readfirstlane_b32 s7, v9
	s_mov_b32 s5, exec_lo
	s_clause 0x1
	global_load_dwordx2 v[10:11], v2, s[26:27] offset:40
	global_load_dwordx4 v[4:7], v2, s[26:27]
	s_waitcnt vmcnt(1)
	v_readfirstlane_b32 s10, v10
	v_readfirstlane_b32 s11, v11
	s_and_b64 s[10:11], s[6:7], s[10:11]
	s_mul_i32 s16, s11, 24
	s_mul_hi_u32 s17, s10, 24
	s_mul_i32 s18, s10, 24
	s_add_i32 s17, s17, s16
	s_waitcnt vmcnt(0)
	v_add_co_u32 v8, vcc_lo, v4, s18
	v_add_co_ci_u32_e32 v9, vcc_lo, s17, v5, vcc_lo
	s_and_saveexec_b32 s16, s4
	s_cbranch_execz .LBB3_922
; %bb.921:
	v_mov_b32_e32 v10, s5
	v_mov_b32_e32 v11, v2
	;; [unrolled: 1-line block ×4, first 2 shown]
	global_store_dwordx4 v[8:9], v[10:13], off offset:8
.LBB3_922:
	s_or_b32 exec_lo, exec_lo, s16
	s_lshl_b64 s[10:11], s[10:11], 12
	s_mov_b32 s16, 0
	v_add_co_u32 v6, vcc_lo, v6, s10
	v_add_co_ci_u32_e32 v7, vcc_lo, s11, v7, vcc_lo
	s_mov_b32 s17, s16
	v_readfirstlane_b32 s10, v6
	v_add_co_u32 v6, vcc_lo, v6, v39
	s_mov_b32 s18, s16
	s_mov_b32 s19, s16
	v_and_or_b32 v0, 0xffffff1f, v0, 32
	v_mov_b32_e32 v3, v2
	v_readfirstlane_b32 s11, v7
	v_mov_b32_e32 v10, s16
	v_add_co_ci_u32_e32 v7, vcc_lo, 0, v7, vcc_lo
	v_mov_b32_e32 v11, s17
	v_mov_b32_e32 v12, s18
	;; [unrolled: 1-line block ×3, first 2 shown]
	global_store_dwordx4 v39, v[0:3], s[10:11]
	global_store_dwordx4 v39, v[10:13], s[10:11] offset:16
	global_store_dwordx4 v39, v[10:13], s[10:11] offset:32
	;; [unrolled: 1-line block ×3, first 2 shown]
	s_and_saveexec_b32 s5, s4
	s_cbranch_execz .LBB3_930
; %bb.923:
	v_mov_b32_e32 v10, 0
	v_mov_b32_e32 v11, s6
	;; [unrolled: 1-line block ×3, first 2 shown]
	s_clause 0x1
	global_load_dwordx2 v[13:14], v10, s[26:27] offset:32 glc dlc
	global_load_dwordx2 v[0:1], v10, s[26:27] offset:40
	s_waitcnt vmcnt(0)
	v_readfirstlane_b32 s10, v0
	v_readfirstlane_b32 s11, v1
	s_and_b64 s[10:11], s[10:11], s[6:7]
	s_mul_i32 s11, s11, 24
	s_mul_hi_u32 s16, s10, 24
	s_mul_i32 s10, s10, 24
	s_add_i32 s16, s16, s11
	v_add_co_u32 v4, vcc_lo, v4, s10
	v_add_co_ci_u32_e32 v5, vcc_lo, s16, v5, vcc_lo
	s_mov_b32 s10, exec_lo
	global_store_dwordx2 v[4:5], v[13:14], off
	s_waitcnt_vscnt null, 0x0
	global_atomic_cmpswap_x2 v[2:3], v10, v[11:14], s[26:27] offset:32 glc
	s_waitcnt vmcnt(0)
	v_cmpx_ne_u64_e64 v[2:3], v[13:14]
	s_cbranch_execz .LBB3_926
; %bb.924:
	s_mov_b32 s11, 0
.LBB3_925:                              ; =>This Inner Loop Header: Depth=1
	v_mov_b32_e32 v0, s6
	v_mov_b32_e32 v1, s7
	s_sleep 1
	global_store_dwordx2 v[4:5], v[2:3], off
	s_waitcnt_vscnt null, 0x0
	global_atomic_cmpswap_x2 v[0:1], v10, v[0:3], s[26:27] offset:32 glc
	s_waitcnt vmcnt(0)
	v_cmp_eq_u64_e32 vcc_lo, v[0:1], v[2:3]
	v_mov_b32_e32 v3, v1
	v_mov_b32_e32 v2, v0
	s_or_b32 s11, vcc_lo, s11
	s_andn2_b32 exec_lo, exec_lo, s11
	s_cbranch_execnz .LBB3_925
.LBB3_926:
	s_or_b32 exec_lo, exec_lo, s10
	v_mov_b32_e32 v3, 0
	s_mov_b32 s11, exec_lo
	s_mov_b32 s10, exec_lo
	v_mbcnt_lo_u32_b32 v2, s11, 0
	global_load_dwordx2 v[0:1], v3, s[26:27] offset:16
	v_cmpx_eq_u32_e32 0, v2
	s_cbranch_execz .LBB3_928
; %bb.927:
	s_bcnt1_i32_b32 s11, s11
	v_mov_b32_e32 v2, s11
	s_waitcnt vmcnt(0)
	global_atomic_add_x2 v[0:1], v[2:3], off offset:8
.LBB3_928:
	s_or_b32 exec_lo, exec_lo, s10
	s_waitcnt vmcnt(0)
	global_load_dwordx2 v[2:3], v[0:1], off offset:16
	s_waitcnt vmcnt(0)
	v_cmp_eq_u64_e32 vcc_lo, 0, v[2:3]
	s_cbranch_vccnz .LBB3_930
; %bb.929:
	global_load_dword v0, v[0:1], off offset:24
	v_mov_b32_e32 v1, 0
	s_waitcnt vmcnt(0)
	v_and_b32_e32 v4, 0x7fffff, v0
	s_waitcnt_vscnt null, 0x0
	global_store_dwordx2 v[2:3], v[0:1], off
	v_readfirstlane_b32 m0, v4
	s_sendmsg sendmsg(MSG_INTERRUPT)
.LBB3_930:
	s_or_b32 exec_lo, exec_lo, s5
	s_branch .LBB3_934
	.p2align	6
.LBB3_931:                              ;   in Loop: Header=BB3_934 Depth=1
	s_or_b32 exec_lo, exec_lo, s5
	v_readfirstlane_b32 s5, v0
	s_cmp_eq_u32 s5, 0
	s_cbranch_scc1 .LBB3_933
; %bb.932:                              ;   in Loop: Header=BB3_934 Depth=1
	s_sleep 1
	s_cbranch_execnz .LBB3_934
	s_branch .LBB3_936
	.p2align	6
.LBB3_933:
	s_branch .LBB3_936
.LBB3_934:                              ; =>This Inner Loop Header: Depth=1
	v_mov_b32_e32 v0, 1
	s_and_saveexec_b32 s5, s4
	s_cbranch_execz .LBB3_931
; %bb.935:                              ;   in Loop: Header=BB3_934 Depth=1
	global_load_dword v0, v[8:9], off offset:20 glc dlc
	s_waitcnt vmcnt(0)
	buffer_gl1_inv
	buffer_gl0_inv
	v_and_b32_e32 v0, 1, v0
	s_branch .LBB3_931
.LBB3_936:
	global_load_dwordx2 v[2:3], v[6:7], off
	s_and_saveexec_b32 s5, s4
	s_cbranch_execz .LBB3_940
; %bb.937:
	v_mov_b32_e32 v8, 0
	s_clause 0x2
	global_load_dwordx2 v[0:1], v8, s[26:27] offset:40
	global_load_dwordx2 v[9:10], v8, s[26:27] offset:24 glc dlc
	global_load_dwordx2 v[6:7], v8, s[26:27]
	s_waitcnt vmcnt(2)
	v_add_co_u32 v11, vcc_lo, v0, 1
	v_add_co_ci_u32_e32 v12, vcc_lo, 0, v1, vcc_lo
	v_add_co_u32 v4, vcc_lo, v11, s6
	v_add_co_ci_u32_e32 v5, vcc_lo, s7, v12, vcc_lo
	v_cmp_eq_u64_e32 vcc_lo, 0, v[4:5]
	v_cndmask_b32_e32 v5, v5, v12, vcc_lo
	v_cndmask_b32_e32 v4, v4, v11, vcc_lo
	v_and_b32_e32 v1, v5, v1
	v_and_b32_e32 v0, v4, v0
	v_mul_lo_u32 v1, v1, 24
	v_mul_hi_u32 v11, v0, 24
	v_mul_lo_u32 v0, v0, 24
	v_add_nc_u32_e32 v1, v11, v1
	s_waitcnt vmcnt(0)
	v_add_co_u32 v0, vcc_lo, v6, v0
	v_mov_b32_e32 v6, v9
	v_add_co_ci_u32_e32 v1, vcc_lo, v7, v1, vcc_lo
	v_mov_b32_e32 v7, v10
	global_store_dwordx2 v[0:1], v[9:10], off
	s_waitcnt_vscnt null, 0x0
	global_atomic_cmpswap_x2 v[6:7], v8, v[4:7], s[26:27] offset:24 glc
	s_waitcnt vmcnt(0)
	v_cmp_ne_u64_e32 vcc_lo, v[6:7], v[9:10]
	s_and_b32 exec_lo, exec_lo, vcc_lo
	s_cbranch_execz .LBB3_940
; %bb.938:
	s_mov_b32 s4, 0
.LBB3_939:                              ; =>This Inner Loop Header: Depth=1
	s_sleep 1
	global_store_dwordx2 v[0:1], v[6:7], off
	s_waitcnt_vscnt null, 0x0
	global_atomic_cmpswap_x2 v[9:10], v8, v[4:7], s[26:27] offset:24 glc
	s_waitcnt vmcnt(0)
	v_cmp_eq_u64_e32 vcc_lo, v[9:10], v[6:7]
	v_mov_b32_e32 v6, v9
	v_mov_b32_e32 v7, v10
	s_or_b32 s4, vcc_lo, s4
	s_andn2_b32 exec_lo, exec_lo, s4
	s_cbranch_execnz .LBB3_939
.LBB3_940:
	s_or_b32 exec_lo, exec_lo, s5
.LBB3_941:
	v_readfirstlane_b32 s4, v50
	s_waitcnt vmcnt(0)
	v_mov_b32_e32 v0, 0
	v_mov_b32_e32 v1, 0
	v_cmp_eq_u32_e64 s4, s4, v50
	s_and_saveexec_b32 s5, s4
	s_cbranch_execz .LBB3_947
; %bb.942:
	v_mov_b32_e32 v4, 0
	s_mov_b32 s6, exec_lo
	global_load_dwordx2 v[7:8], v4, s[26:27] offset:24 glc dlc
	s_waitcnt vmcnt(0)
	buffer_gl1_inv
	buffer_gl0_inv
	s_clause 0x1
	global_load_dwordx2 v[0:1], v4, s[26:27] offset:40
	global_load_dwordx2 v[5:6], v4, s[26:27]
	s_waitcnt vmcnt(1)
	v_and_b32_e32 v1, v1, v8
	v_and_b32_e32 v0, v0, v7
	v_mul_lo_u32 v1, v1, 24
	v_mul_hi_u32 v9, v0, 24
	v_mul_lo_u32 v0, v0, 24
	v_add_nc_u32_e32 v1, v9, v1
	s_waitcnt vmcnt(0)
	v_add_co_u32 v0, vcc_lo, v5, v0
	v_add_co_ci_u32_e32 v1, vcc_lo, v6, v1, vcc_lo
	global_load_dwordx2 v[5:6], v[0:1], off glc dlc
	s_waitcnt vmcnt(0)
	global_atomic_cmpswap_x2 v[0:1], v4, v[5:8], s[26:27] offset:24 glc
	s_waitcnt vmcnt(0)
	buffer_gl1_inv
	buffer_gl0_inv
	v_cmpx_ne_u64_e64 v[0:1], v[7:8]
	s_cbranch_execz .LBB3_946
; %bb.943:
	s_mov_b32 s7, 0
	.p2align	6
.LBB3_944:                              ; =>This Inner Loop Header: Depth=1
	s_sleep 1
	s_clause 0x1
	global_load_dwordx2 v[5:6], v4, s[26:27] offset:40
	global_load_dwordx2 v[9:10], v4, s[26:27]
	v_mov_b32_e32 v8, v1
	v_mov_b32_e32 v7, v0
	s_waitcnt vmcnt(1)
	v_and_b32_e32 v0, v5, v7
	v_and_b32_e32 v5, v6, v8
	s_waitcnt vmcnt(0)
	v_mad_u64_u32 v[0:1], null, v0, 24, v[9:10]
	v_mad_u64_u32 v[5:6], null, v5, 24, v[1:2]
	v_mov_b32_e32 v1, v5
	global_load_dwordx2 v[5:6], v[0:1], off glc dlc
	s_waitcnt vmcnt(0)
	global_atomic_cmpswap_x2 v[0:1], v4, v[5:8], s[26:27] offset:24 glc
	s_waitcnt vmcnt(0)
	buffer_gl1_inv
	buffer_gl0_inv
	v_cmp_eq_u64_e32 vcc_lo, v[0:1], v[7:8]
	s_or_b32 s7, vcc_lo, s7
	s_andn2_b32 exec_lo, exec_lo, s7
	s_cbranch_execnz .LBB3_944
; %bb.945:
	s_or_b32 exec_lo, exec_lo, s7
.LBB3_946:
	s_or_b32 exec_lo, exec_lo, s6
.LBB3_947:
	s_or_b32 exec_lo, exec_lo, s5
	v_mov_b32_e32 v5, 0
	v_readfirstlane_b32 s6, v0
	v_readfirstlane_b32 s7, v1
	s_mov_b32 s5, exec_lo
	s_clause 0x1
	global_load_dwordx2 v[10:11], v5, s[26:27] offset:40
	global_load_dwordx4 v[6:9], v5, s[26:27]
	s_waitcnt vmcnt(1)
	v_readfirstlane_b32 s10, v10
	v_readfirstlane_b32 s11, v11
	s_and_b64 s[10:11], s[6:7], s[10:11]
	s_mul_i32 s16, s11, 24
	s_mul_hi_u32 s17, s10, 24
	s_mul_i32 s18, s10, 24
	s_add_i32 s17, s17, s16
	s_waitcnt vmcnt(0)
	v_add_co_u32 v10, vcc_lo, v6, s18
	v_add_co_ci_u32_e32 v11, vcc_lo, s17, v7, vcc_lo
	s_and_saveexec_b32 s16, s4
	s_cbranch_execz .LBB3_949
; %bb.948:
	v_mov_b32_e32 v4, s5
	v_mov_b32_e32 v13, v5
	;; [unrolled: 1-line block ×5, first 2 shown]
	global_store_dwordx4 v[10:11], v[12:15], off offset:8
.LBB3_949:
	s_or_b32 exec_lo, exec_lo, s16
	s_lshl_b64 s[10:11], s[10:11], 12
	s_mov_b32 s16, 0
	v_add_co_u32 v0, vcc_lo, v8, s10
	v_add_co_ci_u32_e32 v1, vcc_lo, s11, v9, vcc_lo
	s_mov_b32 s17, s16
	s_mov_b32 s18, s16
	;; [unrolled: 1-line block ×3, first 2 shown]
	v_and_or_b32 v2, 0xffffff1d, v2, 34
	v_mov_b32_e32 v4, 0x217
	v_readfirstlane_b32 s10, v0
	v_readfirstlane_b32 s11, v1
	v_mov_b32_e32 v12, s16
	v_mov_b32_e32 v13, s17
	;; [unrolled: 1-line block ×4, first 2 shown]
	global_store_dwordx4 v39, v[2:5], s[10:11]
	global_store_dwordx4 v39, v[12:15], s[10:11] offset:16
	global_store_dwordx4 v39, v[12:15], s[10:11] offset:32
	;; [unrolled: 1-line block ×3, first 2 shown]
	s_and_saveexec_b32 s5, s4
	s_cbranch_execz .LBB3_957
; %bb.950:
	v_mov_b32_e32 v8, 0
	v_mov_b32_e32 v12, s6
	;; [unrolled: 1-line block ×3, first 2 shown]
	s_clause 0x1
	global_load_dwordx2 v[14:15], v8, s[26:27] offset:32 glc dlc
	global_load_dwordx2 v[0:1], v8, s[26:27] offset:40
	s_waitcnt vmcnt(0)
	v_readfirstlane_b32 s10, v0
	v_readfirstlane_b32 s11, v1
	s_and_b64 s[10:11], s[10:11], s[6:7]
	s_mul_i32 s11, s11, 24
	s_mul_hi_u32 s16, s10, 24
	s_mul_i32 s10, s10, 24
	s_add_i32 s16, s16, s11
	v_add_co_u32 v4, vcc_lo, v6, s10
	v_add_co_ci_u32_e32 v5, vcc_lo, s16, v7, vcc_lo
	s_mov_b32 s10, exec_lo
	global_store_dwordx2 v[4:5], v[14:15], off
	s_waitcnt_vscnt null, 0x0
	global_atomic_cmpswap_x2 v[2:3], v8, v[12:15], s[26:27] offset:32 glc
	s_waitcnt vmcnt(0)
	v_cmpx_ne_u64_e64 v[2:3], v[14:15]
	s_cbranch_execz .LBB3_953
; %bb.951:
	s_mov_b32 s11, 0
.LBB3_952:                              ; =>This Inner Loop Header: Depth=1
	v_mov_b32_e32 v0, s6
	v_mov_b32_e32 v1, s7
	s_sleep 1
	global_store_dwordx2 v[4:5], v[2:3], off
	s_waitcnt_vscnt null, 0x0
	global_atomic_cmpswap_x2 v[0:1], v8, v[0:3], s[26:27] offset:32 glc
	s_waitcnt vmcnt(0)
	v_cmp_eq_u64_e32 vcc_lo, v[0:1], v[2:3]
	v_mov_b32_e32 v3, v1
	v_mov_b32_e32 v2, v0
	s_or_b32 s11, vcc_lo, s11
	s_andn2_b32 exec_lo, exec_lo, s11
	s_cbranch_execnz .LBB3_952
.LBB3_953:
	s_or_b32 exec_lo, exec_lo, s10
	v_mov_b32_e32 v3, 0
	s_mov_b32 s11, exec_lo
	s_mov_b32 s10, exec_lo
	v_mbcnt_lo_u32_b32 v2, s11, 0
	global_load_dwordx2 v[0:1], v3, s[26:27] offset:16
	v_cmpx_eq_u32_e32 0, v2
	s_cbranch_execz .LBB3_955
; %bb.954:
	s_bcnt1_i32_b32 s11, s11
	v_mov_b32_e32 v2, s11
	s_waitcnt vmcnt(0)
	global_atomic_add_x2 v[0:1], v[2:3], off offset:8
.LBB3_955:
	s_or_b32 exec_lo, exec_lo, s10
	s_waitcnt vmcnt(0)
	global_load_dwordx2 v[2:3], v[0:1], off offset:16
	s_waitcnt vmcnt(0)
	v_cmp_eq_u64_e32 vcc_lo, 0, v[2:3]
	s_cbranch_vccnz .LBB3_957
; %bb.956:
	global_load_dword v0, v[0:1], off offset:24
	v_mov_b32_e32 v1, 0
	s_waitcnt vmcnt(0)
	v_and_b32_e32 v4, 0x7fffff, v0
	s_waitcnt_vscnt null, 0x0
	global_store_dwordx2 v[2:3], v[0:1], off
	v_readfirstlane_b32 m0, v4
	s_sendmsg sendmsg(MSG_INTERRUPT)
.LBB3_957:
	s_or_b32 exec_lo, exec_lo, s5
	s_branch .LBB3_961
	.p2align	6
.LBB3_958:                              ;   in Loop: Header=BB3_961 Depth=1
	s_or_b32 exec_lo, exec_lo, s5
	v_readfirstlane_b32 s5, v0
	s_cmp_eq_u32 s5, 0
	s_cbranch_scc1 .LBB3_960
; %bb.959:                              ;   in Loop: Header=BB3_961 Depth=1
	s_sleep 1
	s_cbranch_execnz .LBB3_961
	s_branch .LBB3_963
	.p2align	6
.LBB3_960:
	s_branch .LBB3_963
.LBB3_961:                              ; =>This Inner Loop Header: Depth=1
	v_mov_b32_e32 v0, 1
	s_and_saveexec_b32 s5, s4
	s_cbranch_execz .LBB3_958
; %bb.962:                              ;   in Loop: Header=BB3_961 Depth=1
	global_load_dword v0, v[10:11], off offset:20 glc dlc
	s_waitcnt vmcnt(0)
	buffer_gl1_inv
	buffer_gl0_inv
	v_and_b32_e32 v0, 1, v0
	s_branch .LBB3_958
.LBB3_963:
	s_and_saveexec_b32 s5, s4
	s_cbranch_execz .LBB3_967
; %bb.964:
	v_mov_b32_e32 v6, 0
	s_clause 0x2
	global_load_dwordx2 v[2:3], v6, s[26:27] offset:40
	global_load_dwordx2 v[7:8], v6, s[26:27] offset:24 glc dlc
	global_load_dwordx2 v[4:5], v6, s[26:27]
	s_waitcnt vmcnt(2)
	v_add_co_u32 v9, vcc_lo, v2, 1
	v_add_co_ci_u32_e32 v10, vcc_lo, 0, v3, vcc_lo
	v_add_co_u32 v0, vcc_lo, v9, s6
	v_add_co_ci_u32_e32 v1, vcc_lo, s7, v10, vcc_lo
	v_cmp_eq_u64_e32 vcc_lo, 0, v[0:1]
	v_cndmask_b32_e32 v1, v1, v10, vcc_lo
	v_cndmask_b32_e32 v0, v0, v9, vcc_lo
	v_and_b32_e32 v3, v1, v3
	v_and_b32_e32 v2, v0, v2
	v_mul_lo_u32 v3, v3, 24
	v_mul_hi_u32 v9, v2, 24
	v_mul_lo_u32 v2, v2, 24
	v_add_nc_u32_e32 v3, v9, v3
	s_waitcnt vmcnt(0)
	v_add_co_u32 v4, vcc_lo, v4, v2
	v_mov_b32_e32 v2, v7
	v_add_co_ci_u32_e32 v5, vcc_lo, v5, v3, vcc_lo
	v_mov_b32_e32 v3, v8
	global_store_dwordx2 v[4:5], v[7:8], off
	s_waitcnt_vscnt null, 0x0
	global_atomic_cmpswap_x2 v[2:3], v6, v[0:3], s[26:27] offset:24 glc
	s_waitcnt vmcnt(0)
	v_cmp_ne_u64_e32 vcc_lo, v[2:3], v[7:8]
	s_and_b32 exec_lo, exec_lo, vcc_lo
	s_cbranch_execz .LBB3_967
; %bb.965:
	s_mov_b32 s4, 0
.LBB3_966:                              ; =>This Inner Loop Header: Depth=1
	s_sleep 1
	global_store_dwordx2 v[4:5], v[2:3], off
	s_waitcnt_vscnt null, 0x0
	global_atomic_cmpswap_x2 v[7:8], v6, v[0:3], s[26:27] offset:24 glc
	s_waitcnt vmcnt(0)
	v_cmp_eq_u64_e32 vcc_lo, v[7:8], v[2:3]
	v_mov_b32_e32 v2, v7
	v_mov_b32_e32 v3, v8
	s_or_b32 s4, vcc_lo, s4
	s_andn2_b32 exec_lo, exec_lo, s4
	s_cbranch_execnz .LBB3_966
.LBB3_967:
	s_or_b32 exec_lo, exec_lo, s5
	v_readfirstlane_b32 s4, v50
	v_mov_b32_e32 v6, 0
	v_mov_b32_e32 v7, 0
	v_cmp_eq_u32_e64 s4, s4, v50
	s_and_saveexec_b32 s5, s4
	s_cbranch_execz .LBB3_973
; %bb.968:
	v_mov_b32_e32 v0, 0
	s_mov_b32 s6, exec_lo
	global_load_dwordx2 v[3:4], v0, s[26:27] offset:24 glc dlc
	s_waitcnt vmcnt(0)
	buffer_gl1_inv
	buffer_gl0_inv
	s_clause 0x1
	global_load_dwordx2 v[1:2], v0, s[26:27] offset:40
	global_load_dwordx2 v[5:6], v0, s[26:27]
	s_waitcnt vmcnt(1)
	v_and_b32_e32 v2, v2, v4
	v_and_b32_e32 v1, v1, v3
	v_mul_lo_u32 v2, v2, 24
	v_mul_hi_u32 v7, v1, 24
	v_mul_lo_u32 v1, v1, 24
	v_add_nc_u32_e32 v2, v7, v2
	s_waitcnt vmcnt(0)
	v_add_co_u32 v1, vcc_lo, v5, v1
	v_add_co_ci_u32_e32 v2, vcc_lo, v6, v2, vcc_lo
	global_load_dwordx2 v[1:2], v[1:2], off glc dlc
	s_waitcnt vmcnt(0)
	global_atomic_cmpswap_x2 v[6:7], v0, v[1:4], s[26:27] offset:24 glc
	s_waitcnt vmcnt(0)
	buffer_gl1_inv
	buffer_gl0_inv
	v_cmpx_ne_u64_e64 v[6:7], v[3:4]
	s_cbranch_execz .LBB3_972
; %bb.969:
	s_mov_b32 s7, 0
	.p2align	6
.LBB3_970:                              ; =>This Inner Loop Header: Depth=1
	s_sleep 1
	s_clause 0x1
	global_load_dwordx2 v[1:2], v0, s[26:27] offset:40
	global_load_dwordx2 v[8:9], v0, s[26:27]
	v_mov_b32_e32 v3, v6
	v_mov_b32_e32 v4, v7
	s_waitcnt vmcnt(1)
	v_and_b32_e32 v1, v1, v3
	v_and_b32_e32 v2, v2, v4
	s_waitcnt vmcnt(0)
	v_mad_u64_u32 v[5:6], null, v1, 24, v[8:9]
	v_mov_b32_e32 v1, v6
	v_mad_u64_u32 v[1:2], null, v2, 24, v[1:2]
	v_mov_b32_e32 v6, v1
	global_load_dwordx2 v[1:2], v[5:6], off glc dlc
	s_waitcnt vmcnt(0)
	global_atomic_cmpswap_x2 v[6:7], v0, v[1:4], s[26:27] offset:24 glc
	s_waitcnt vmcnt(0)
	buffer_gl1_inv
	buffer_gl0_inv
	v_cmp_eq_u64_e32 vcc_lo, v[6:7], v[3:4]
	s_or_b32 s7, vcc_lo, s7
	s_andn2_b32 exec_lo, exec_lo, s7
	s_cbranch_execnz .LBB3_970
; %bb.971:
	s_or_b32 exec_lo, exec_lo, s7
.LBB3_972:
	s_or_b32 exec_lo, exec_lo, s6
.LBB3_973:
	s_or_b32 exec_lo, exec_lo, s5
	v_mov_b32_e32 v5, 0
	v_readfirstlane_b32 s6, v6
	v_readfirstlane_b32 s7, v7
	s_mov_b32 s5, exec_lo
	s_clause 0x1
	global_load_dwordx2 v[8:9], v5, s[26:27] offset:40
	global_load_dwordx4 v[0:3], v5, s[26:27]
	s_waitcnt vmcnt(1)
	v_readfirstlane_b32 s10, v8
	v_readfirstlane_b32 s11, v9
	s_and_b64 s[10:11], s[6:7], s[10:11]
	s_mul_i32 s16, s11, 24
	s_mul_hi_u32 s17, s10, 24
	s_mul_i32 s18, s10, 24
	s_add_i32 s17, s17, s16
	s_waitcnt vmcnt(0)
	v_add_co_u32 v8, vcc_lo, v0, s18
	v_add_co_ci_u32_e32 v9, vcc_lo, s17, v1, vcc_lo
	s_and_saveexec_b32 s16, s4
	s_cbranch_execz .LBB3_975
; %bb.974:
	v_mov_b32_e32 v4, s5
	v_mov_b32_e32 v6, 2
	;; [unrolled: 1-line block ×3, first 2 shown]
	global_store_dwordx4 v[8:9], v[4:7], off offset:8
.LBB3_975:
	s_or_b32 exec_lo, exec_lo, s16
	s_lshl_b64 s[10:11], s[10:11], 12
	s_mov_b32 s16, 0
	v_add_co_u32 v2, vcc_lo, v2, s10
	v_add_co_ci_u32_e32 v3, vcc_lo, s11, v3, vcc_lo
	s_mov_b32 s17, s16
	v_add_co_u32 v10, vcc_lo, v2, v39
	s_mov_b32 s18, s16
	s_mov_b32 s19, s16
	v_mov_b32_e32 v4, 33
	v_mov_b32_e32 v6, v5
	;; [unrolled: 1-line block ×3, first 2 shown]
	v_readfirstlane_b32 s10, v2
	v_readfirstlane_b32 s11, v3
	v_mov_b32_e32 v12, s16
	v_add_co_ci_u32_e32 v11, vcc_lo, 0, v3, vcc_lo
	v_mov_b32_e32 v13, s17
	v_mov_b32_e32 v14, s18
	;; [unrolled: 1-line block ×3, first 2 shown]
	global_store_dwordx4 v39, v[4:7], s[10:11]
	global_store_dwordx4 v39, v[12:15], s[10:11] offset:16
	global_store_dwordx4 v39, v[12:15], s[10:11] offset:32
	;; [unrolled: 1-line block ×3, first 2 shown]
	s_and_saveexec_b32 s5, s4
	s_cbranch_execz .LBB3_983
; %bb.976:
	v_mov_b32_e32 v6, 0
	v_mov_b32_e32 v12, s6
	;; [unrolled: 1-line block ×3, first 2 shown]
	s_clause 0x1
	global_load_dwordx2 v[14:15], v6, s[26:27] offset:32 glc dlc
	global_load_dwordx2 v[2:3], v6, s[26:27] offset:40
	s_waitcnt vmcnt(0)
	v_readfirstlane_b32 s10, v2
	v_readfirstlane_b32 s11, v3
	s_and_b64 s[10:11], s[10:11], s[6:7]
	s_mul_i32 s11, s11, 24
	s_mul_hi_u32 s16, s10, 24
	s_mul_i32 s10, s10, 24
	s_add_i32 s16, s16, s11
	v_add_co_u32 v4, vcc_lo, v0, s10
	v_add_co_ci_u32_e32 v5, vcc_lo, s16, v1, vcc_lo
	s_mov_b32 s10, exec_lo
	global_store_dwordx2 v[4:5], v[14:15], off
	s_waitcnt_vscnt null, 0x0
	global_atomic_cmpswap_x2 v[2:3], v6, v[12:15], s[26:27] offset:32 glc
	s_waitcnt vmcnt(0)
	v_cmpx_ne_u64_e64 v[2:3], v[14:15]
	s_cbranch_execz .LBB3_979
; %bb.977:
	s_mov_b32 s11, 0
.LBB3_978:                              ; =>This Inner Loop Header: Depth=1
	v_mov_b32_e32 v0, s6
	v_mov_b32_e32 v1, s7
	s_sleep 1
	global_store_dwordx2 v[4:5], v[2:3], off
	s_waitcnt_vscnt null, 0x0
	global_atomic_cmpswap_x2 v[0:1], v6, v[0:3], s[26:27] offset:32 glc
	s_waitcnt vmcnt(0)
	v_cmp_eq_u64_e32 vcc_lo, v[0:1], v[2:3]
	v_mov_b32_e32 v3, v1
	v_mov_b32_e32 v2, v0
	s_or_b32 s11, vcc_lo, s11
	s_andn2_b32 exec_lo, exec_lo, s11
	s_cbranch_execnz .LBB3_978
.LBB3_979:
	s_or_b32 exec_lo, exec_lo, s10
	v_mov_b32_e32 v3, 0
	s_mov_b32 s11, exec_lo
	s_mov_b32 s10, exec_lo
	v_mbcnt_lo_u32_b32 v2, s11, 0
	global_load_dwordx2 v[0:1], v3, s[26:27] offset:16
	v_cmpx_eq_u32_e32 0, v2
	s_cbranch_execz .LBB3_981
; %bb.980:
	s_bcnt1_i32_b32 s11, s11
	v_mov_b32_e32 v2, s11
	s_waitcnt vmcnt(0)
	global_atomic_add_x2 v[0:1], v[2:3], off offset:8
.LBB3_981:
	s_or_b32 exec_lo, exec_lo, s10
	s_waitcnt vmcnt(0)
	global_load_dwordx2 v[2:3], v[0:1], off offset:16
	s_waitcnt vmcnt(0)
	v_cmp_eq_u64_e32 vcc_lo, 0, v[2:3]
	s_cbranch_vccnz .LBB3_983
; %bb.982:
	global_load_dword v0, v[0:1], off offset:24
	v_mov_b32_e32 v1, 0
	s_waitcnt vmcnt(0)
	v_and_b32_e32 v4, 0x7fffff, v0
	s_waitcnt_vscnt null, 0x0
	global_store_dwordx2 v[2:3], v[0:1], off
	v_readfirstlane_b32 m0, v4
	s_sendmsg sendmsg(MSG_INTERRUPT)
.LBB3_983:
	s_or_b32 exec_lo, exec_lo, s5
	s_branch .LBB3_987
	.p2align	6
.LBB3_984:                              ;   in Loop: Header=BB3_987 Depth=1
	s_or_b32 exec_lo, exec_lo, s5
	v_readfirstlane_b32 s5, v0
	s_cmp_eq_u32 s5, 0
	s_cbranch_scc1 .LBB3_986
; %bb.985:                              ;   in Loop: Header=BB3_987 Depth=1
	s_sleep 1
	s_cbranch_execnz .LBB3_987
	s_branch .LBB3_989
	.p2align	6
.LBB3_986:
	s_branch .LBB3_989
.LBB3_987:                              ; =>This Inner Loop Header: Depth=1
	v_mov_b32_e32 v0, 1
	s_and_saveexec_b32 s5, s4
	s_cbranch_execz .LBB3_984
; %bb.988:                              ;   in Loop: Header=BB3_987 Depth=1
	global_load_dword v0, v[8:9], off offset:20 glc dlc
	s_waitcnt vmcnt(0)
	buffer_gl1_inv
	buffer_gl0_inv
	v_and_b32_e32 v0, 1, v0
	s_branch .LBB3_984
.LBB3_989:
	global_load_dwordx2 v[0:1], v[10:11], off
	s_and_saveexec_b32 s5, s4
	s_cbranch_execz .LBB3_993
; %bb.990:
	v_mov_b32_e32 v8, 0
	s_clause 0x2
	global_load_dwordx2 v[4:5], v8, s[26:27] offset:40
	global_load_dwordx2 v[9:10], v8, s[26:27] offset:24 glc dlc
	global_load_dwordx2 v[6:7], v8, s[26:27]
	s_waitcnt vmcnt(2)
	v_add_co_u32 v11, vcc_lo, v4, 1
	v_add_co_ci_u32_e32 v12, vcc_lo, 0, v5, vcc_lo
	v_add_co_u32 v2, vcc_lo, v11, s6
	v_add_co_ci_u32_e32 v3, vcc_lo, s7, v12, vcc_lo
	v_cmp_eq_u64_e32 vcc_lo, 0, v[2:3]
	v_cndmask_b32_e32 v3, v3, v12, vcc_lo
	v_cndmask_b32_e32 v2, v2, v11, vcc_lo
	v_and_b32_e32 v5, v3, v5
	v_and_b32_e32 v4, v2, v4
	v_mul_lo_u32 v5, v5, 24
	v_mul_hi_u32 v11, v4, 24
	v_mul_lo_u32 v4, v4, 24
	v_add_nc_u32_e32 v5, v11, v5
	s_waitcnt vmcnt(0)
	v_add_co_u32 v6, vcc_lo, v6, v4
	v_mov_b32_e32 v4, v9
	v_add_co_ci_u32_e32 v7, vcc_lo, v7, v5, vcc_lo
	v_mov_b32_e32 v5, v10
	global_store_dwordx2 v[6:7], v[9:10], off
	s_waitcnt_vscnt null, 0x0
	global_atomic_cmpswap_x2 v[4:5], v8, v[2:5], s[26:27] offset:24 glc
	s_waitcnt vmcnt(0)
	v_cmp_ne_u64_e32 vcc_lo, v[4:5], v[9:10]
	s_and_b32 exec_lo, exec_lo, vcc_lo
	s_cbranch_execz .LBB3_993
; %bb.991:
	s_mov_b32 s4, 0
.LBB3_992:                              ; =>This Inner Loop Header: Depth=1
	s_sleep 1
	global_store_dwordx2 v[6:7], v[4:5], off
	s_waitcnt_vscnt null, 0x0
	global_atomic_cmpswap_x2 v[9:10], v8, v[2:5], s[26:27] offset:24 glc
	s_waitcnt vmcnt(0)
	v_cmp_eq_u64_e32 vcc_lo, v[9:10], v[4:5]
	v_mov_b32_e32 v4, v9
	v_mov_b32_e32 v5, v10
	s_or_b32 s4, vcc_lo, s4
	s_andn2_b32 exec_lo, exec_lo, s4
	s_cbranch_execnz .LBB3_992
.LBB3_993:
	s_or_b32 exec_lo, exec_lo, s5
	s_and_b32 vcc_lo, exec_lo, s35
	s_cbranch_vccz .LBB3_1072
; %bb.994:
	s_waitcnt vmcnt(0)
	v_and_b32_e32 v31, 2, v0
	v_mov_b32_e32 v6, 0
	v_and_b32_e32 v2, -3, v0
	v_mov_b32_e32 v3, v1
	v_mov_b32_e32 v7, 2
	;; [unrolled: 1-line block ×3, first 2 shown]
	s_mov_b64 s[10:11], 3
	s_getpc_b64 s[6:7]
	s_add_u32 s6, s6, .str.6@rel32@lo+4
	s_addc_u32 s7, s7, .str.6@rel32@hi+12
	s_branch .LBB3_996
.LBB3_995:                              ;   in Loop: Header=BB3_996 Depth=1
	s_or_b32 exec_lo, exec_lo, s5
	s_sub_u32 s10, s10, s16
	s_subb_u32 s11, s11, s17
	s_add_u32 s6, s6, s16
	s_addc_u32 s7, s7, s17
	s_cmp_lg_u64 s[10:11], 0
	s_cbranch_scc0 .LBB3_1071
.LBB3_996:                              ; =>This Loop Header: Depth=1
                                        ;     Child Loop BB3_1005 Depth 2
                                        ;     Child Loop BB3_1001 Depth 2
	;; [unrolled: 1-line block ×11, first 2 shown]
	v_cmp_lt_u64_e64 s4, s[10:11], 56
	v_cmp_gt_u64_e64 s5, s[10:11], 7
                                        ; implicit-def: $vgpr11_vgpr12
                                        ; implicit-def: $sgpr22
	s_and_b32 s4, s4, exec_lo
	s_cselect_b32 s17, s11, 0
	s_cselect_b32 s16, s10, 56
	s_and_b32 vcc_lo, exec_lo, s5
	s_mov_b32 s4, -1
	s_cbranch_vccz .LBB3_1003
; %bb.997:                              ;   in Loop: Header=BB3_996 Depth=1
	s_andn2_b32 vcc_lo, exec_lo, s4
	s_mov_b64 s[4:5], s[6:7]
	s_cbranch_vccz .LBB3_1007
.LBB3_998:                              ;   in Loop: Header=BB3_996 Depth=1
	s_cmp_gt_u32 s22, 7
	s_cbranch_scc1 .LBB3_1008
.LBB3_999:                              ;   in Loop: Header=BB3_996 Depth=1
	v_mov_b32_e32 v13, 0
	v_mov_b32_e32 v14, 0
	s_cmp_eq_u32 s22, 0
	s_cbranch_scc1 .LBB3_1002
; %bb.1000:                             ;   in Loop: Header=BB3_996 Depth=1
	s_mov_b64 s[18:19], 0
	s_mov_b64 s[20:21], 0
.LBB3_1001:                             ;   Parent Loop BB3_996 Depth=1
                                        ; =>  This Inner Loop Header: Depth=2
	s_add_u32 s24, s4, s20
	s_addc_u32 s25, s5, s21
	s_add_u32 s20, s20, 1
	global_load_ubyte v4, v6, s[24:25]
	s_addc_u32 s21, s21, 0
	s_waitcnt vmcnt(0)
	v_and_b32_e32 v5, 0xffff, v4
	v_lshlrev_b64 v[4:5], s18, v[5:6]
	s_add_u32 s18, s18, 8
	s_addc_u32 s19, s19, 0
	s_cmp_lg_u32 s22, s20
	v_or_b32_e32 v13, v4, v13
	v_or_b32_e32 v14, v5, v14
	s_cbranch_scc1 .LBB3_1001
.LBB3_1002:                             ;   in Loop: Header=BB3_996 Depth=1
	s_mov_b32 s23, 0
	s_cbranch_execz .LBB3_1009
	s_branch .LBB3_1010
.LBB3_1003:                             ;   in Loop: Header=BB3_996 Depth=1
	v_mov_b32_e32 v11, 0
	v_mov_b32_e32 v12, 0
	s_cmp_eq_u64 s[10:11], 0
	s_mov_b64 s[4:5], 0
	s_cbranch_scc1 .LBB3_1006
; %bb.1004:                             ;   in Loop: Header=BB3_996 Depth=1
	v_mov_b32_e32 v11, 0
	v_mov_b32_e32 v12, 0
	s_lshl_b64 s[18:19], s[16:17], 3
	s_mov_b64 s[20:21], s[6:7]
.LBB3_1005:                             ;   Parent Loop BB3_996 Depth=1
                                        ; =>  This Inner Loop Header: Depth=2
	global_load_ubyte v4, v6, s[20:21]
	s_waitcnt vmcnt(0)
	v_and_b32_e32 v5, 0xffff, v4
	v_lshlrev_b64 v[4:5], s4, v[5:6]
	s_add_u32 s4, s4, 8
	s_addc_u32 s5, s5, 0
	s_add_u32 s20, s20, 1
	s_addc_u32 s21, s21, 0
	s_cmp_lg_u32 s18, s4
	v_or_b32_e32 v11, v4, v11
	v_or_b32_e32 v12, v5, v12
	s_cbranch_scc1 .LBB3_1005
.LBB3_1006:                             ;   in Loop: Header=BB3_996 Depth=1
	s_mov_b32 s22, 0
	s_mov_b64 s[4:5], s[6:7]
	s_cbranch_execnz .LBB3_998
.LBB3_1007:                             ;   in Loop: Header=BB3_996 Depth=1
	global_load_dwordx2 v[11:12], v6, s[6:7]
	s_add_i32 s22, s16, -8
	s_add_u32 s4, s6, 8
	s_addc_u32 s5, s7, 0
	s_cmp_gt_u32 s22, 7
	s_cbranch_scc0 .LBB3_999
.LBB3_1008:                             ;   in Loop: Header=BB3_996 Depth=1
                                        ; implicit-def: $vgpr13_vgpr14
                                        ; implicit-def: $sgpr23
.LBB3_1009:                             ;   in Loop: Header=BB3_996 Depth=1
	global_load_dwordx2 v[13:14], v6, s[4:5]
	s_add_i32 s23, s22, -8
	s_add_u32 s4, s4, 8
	s_addc_u32 s5, s5, 0
.LBB3_1010:                             ;   in Loop: Header=BB3_996 Depth=1
	s_cmp_gt_u32 s23, 7
	s_cbranch_scc1 .LBB3_1015
; %bb.1011:                             ;   in Loop: Header=BB3_996 Depth=1
	v_mov_b32_e32 v15, 0
	v_mov_b32_e32 v16, 0
	s_cmp_eq_u32 s23, 0
	s_cbranch_scc1 .LBB3_1014
; %bb.1012:                             ;   in Loop: Header=BB3_996 Depth=1
	s_mov_b64 s[18:19], 0
	s_mov_b64 s[20:21], 0
.LBB3_1013:                             ;   Parent Loop BB3_996 Depth=1
                                        ; =>  This Inner Loop Header: Depth=2
	s_add_u32 s24, s4, s20
	s_addc_u32 s25, s5, s21
	s_add_u32 s20, s20, 1
	global_load_ubyte v4, v6, s[24:25]
	s_addc_u32 s21, s21, 0
	s_waitcnt vmcnt(0)
	v_and_b32_e32 v5, 0xffff, v4
	v_lshlrev_b64 v[4:5], s18, v[5:6]
	s_add_u32 s18, s18, 8
	s_addc_u32 s19, s19, 0
	s_cmp_lg_u32 s23, s20
	v_or_b32_e32 v15, v4, v15
	v_or_b32_e32 v16, v5, v16
	s_cbranch_scc1 .LBB3_1013
.LBB3_1014:                             ;   in Loop: Header=BB3_996 Depth=1
	s_mov_b32 s22, 0
	s_cbranch_execz .LBB3_1016
	s_branch .LBB3_1017
.LBB3_1015:                             ;   in Loop: Header=BB3_996 Depth=1
                                        ; implicit-def: $sgpr22
.LBB3_1016:                             ;   in Loop: Header=BB3_996 Depth=1
	global_load_dwordx2 v[15:16], v6, s[4:5]
	s_add_i32 s22, s23, -8
	s_add_u32 s4, s4, 8
	s_addc_u32 s5, s5, 0
.LBB3_1017:                             ;   in Loop: Header=BB3_996 Depth=1
	s_cmp_gt_u32 s22, 7
	s_cbranch_scc1 .LBB3_1022
; %bb.1018:                             ;   in Loop: Header=BB3_996 Depth=1
	v_mov_b32_e32 v17, 0
	v_mov_b32_e32 v18, 0
	s_cmp_eq_u32 s22, 0
	s_cbranch_scc1 .LBB3_1021
; %bb.1019:                             ;   in Loop: Header=BB3_996 Depth=1
	s_mov_b64 s[18:19], 0
	s_mov_b64 s[20:21], 0
.LBB3_1020:                             ;   Parent Loop BB3_996 Depth=1
                                        ; =>  This Inner Loop Header: Depth=2
	s_add_u32 s24, s4, s20
	s_addc_u32 s25, s5, s21
	s_add_u32 s20, s20, 1
	global_load_ubyte v4, v6, s[24:25]
	s_addc_u32 s21, s21, 0
	s_waitcnt vmcnt(0)
	v_and_b32_e32 v5, 0xffff, v4
	v_lshlrev_b64 v[4:5], s18, v[5:6]
	s_add_u32 s18, s18, 8
	s_addc_u32 s19, s19, 0
	s_cmp_lg_u32 s22, s20
	v_or_b32_e32 v17, v4, v17
	v_or_b32_e32 v18, v5, v18
	s_cbranch_scc1 .LBB3_1020
.LBB3_1021:                             ;   in Loop: Header=BB3_996 Depth=1
	s_mov_b32 s23, 0
	s_cbranch_execz .LBB3_1023
	s_branch .LBB3_1024
.LBB3_1022:                             ;   in Loop: Header=BB3_996 Depth=1
                                        ; implicit-def: $vgpr17_vgpr18
                                        ; implicit-def: $sgpr23
.LBB3_1023:                             ;   in Loop: Header=BB3_996 Depth=1
	global_load_dwordx2 v[17:18], v6, s[4:5]
	s_add_i32 s23, s22, -8
	s_add_u32 s4, s4, 8
	s_addc_u32 s5, s5, 0
.LBB3_1024:                             ;   in Loop: Header=BB3_996 Depth=1
	s_cmp_gt_u32 s23, 7
	s_cbranch_scc1 .LBB3_1029
; %bb.1025:                             ;   in Loop: Header=BB3_996 Depth=1
	v_mov_b32_e32 v19, 0
	v_mov_b32_e32 v20, 0
	s_cmp_eq_u32 s23, 0
	s_cbranch_scc1 .LBB3_1028
; %bb.1026:                             ;   in Loop: Header=BB3_996 Depth=1
	s_mov_b64 s[18:19], 0
	s_mov_b64 s[20:21], 0
.LBB3_1027:                             ;   Parent Loop BB3_996 Depth=1
                                        ; =>  This Inner Loop Header: Depth=2
	s_add_u32 s24, s4, s20
	s_addc_u32 s25, s5, s21
	s_add_u32 s20, s20, 1
	global_load_ubyte v4, v6, s[24:25]
	s_addc_u32 s21, s21, 0
	s_waitcnt vmcnt(0)
	v_and_b32_e32 v5, 0xffff, v4
	v_lshlrev_b64 v[4:5], s18, v[5:6]
	s_add_u32 s18, s18, 8
	s_addc_u32 s19, s19, 0
	s_cmp_lg_u32 s23, s20
	v_or_b32_e32 v19, v4, v19
	v_or_b32_e32 v20, v5, v20
	s_cbranch_scc1 .LBB3_1027
.LBB3_1028:                             ;   in Loop: Header=BB3_996 Depth=1
	s_mov_b32 s22, 0
	s_cbranch_execz .LBB3_1030
	s_branch .LBB3_1031
.LBB3_1029:                             ;   in Loop: Header=BB3_996 Depth=1
                                        ; implicit-def: $sgpr22
.LBB3_1030:                             ;   in Loop: Header=BB3_996 Depth=1
	global_load_dwordx2 v[19:20], v6, s[4:5]
	s_add_i32 s22, s23, -8
	s_add_u32 s4, s4, 8
	s_addc_u32 s5, s5, 0
.LBB3_1031:                             ;   in Loop: Header=BB3_996 Depth=1
	s_cmp_gt_u32 s22, 7
	s_cbranch_scc1 .LBB3_1036
; %bb.1032:                             ;   in Loop: Header=BB3_996 Depth=1
	v_mov_b32_e32 v21, 0
	v_mov_b32_e32 v22, 0
	s_cmp_eq_u32 s22, 0
	s_cbranch_scc1 .LBB3_1035
; %bb.1033:                             ;   in Loop: Header=BB3_996 Depth=1
	s_mov_b64 s[18:19], 0
	s_mov_b64 s[20:21], 0
.LBB3_1034:                             ;   Parent Loop BB3_996 Depth=1
                                        ; =>  This Inner Loop Header: Depth=2
	s_add_u32 s24, s4, s20
	s_addc_u32 s25, s5, s21
	s_add_u32 s20, s20, 1
	global_load_ubyte v4, v6, s[24:25]
	s_addc_u32 s21, s21, 0
	s_waitcnt vmcnt(0)
	v_and_b32_e32 v5, 0xffff, v4
	v_lshlrev_b64 v[4:5], s18, v[5:6]
	s_add_u32 s18, s18, 8
	s_addc_u32 s19, s19, 0
	s_cmp_lg_u32 s22, s20
	v_or_b32_e32 v21, v4, v21
	v_or_b32_e32 v22, v5, v22
	s_cbranch_scc1 .LBB3_1034
.LBB3_1035:                             ;   in Loop: Header=BB3_996 Depth=1
	s_mov_b32 s23, 0
	s_cbranch_execz .LBB3_1037
	s_branch .LBB3_1038
.LBB3_1036:                             ;   in Loop: Header=BB3_996 Depth=1
                                        ; implicit-def: $vgpr21_vgpr22
                                        ; implicit-def: $sgpr23
.LBB3_1037:                             ;   in Loop: Header=BB3_996 Depth=1
	global_load_dwordx2 v[21:22], v6, s[4:5]
	s_add_i32 s23, s22, -8
	s_add_u32 s4, s4, 8
	s_addc_u32 s5, s5, 0
.LBB3_1038:                             ;   in Loop: Header=BB3_996 Depth=1
	s_cmp_gt_u32 s23, 7
	s_cbranch_scc1 .LBB3_1043
; %bb.1039:                             ;   in Loop: Header=BB3_996 Depth=1
	v_mov_b32_e32 v23, 0
	v_mov_b32_e32 v24, 0
	s_cmp_eq_u32 s23, 0
	s_cbranch_scc1 .LBB3_1042
; %bb.1040:                             ;   in Loop: Header=BB3_996 Depth=1
	s_mov_b64 s[18:19], 0
	s_mov_b64 s[20:21], s[4:5]
.LBB3_1041:                             ;   Parent Loop BB3_996 Depth=1
                                        ; =>  This Inner Loop Header: Depth=2
	global_load_ubyte v4, v6, s[20:21]
	s_add_i32 s23, s23, -1
	s_waitcnt vmcnt(0)
	v_and_b32_e32 v5, 0xffff, v4
	v_lshlrev_b64 v[4:5], s18, v[5:6]
	s_add_u32 s18, s18, 8
	s_addc_u32 s19, s19, 0
	s_add_u32 s20, s20, 1
	s_addc_u32 s21, s21, 0
	s_cmp_lg_u32 s23, 0
	v_or_b32_e32 v23, v4, v23
	v_or_b32_e32 v24, v5, v24
	s_cbranch_scc1 .LBB3_1041
.LBB3_1042:                             ;   in Loop: Header=BB3_996 Depth=1
	s_cbranch_execz .LBB3_1044
	s_branch .LBB3_1045
.LBB3_1043:                             ;   in Loop: Header=BB3_996 Depth=1
.LBB3_1044:                             ;   in Loop: Header=BB3_996 Depth=1
	global_load_dwordx2 v[23:24], v6, s[4:5]
.LBB3_1045:                             ;   in Loop: Header=BB3_996 Depth=1
	v_readfirstlane_b32 s4, v50
	s_waitcnt vmcnt(0)
	v_mov_b32_e32 v4, 0
	v_mov_b32_e32 v5, 0
	v_cmp_eq_u32_e64 s4, s4, v50
	s_and_saveexec_b32 s5, s4
	s_cbranch_execz .LBB3_1051
; %bb.1046:                             ;   in Loop: Header=BB3_996 Depth=1
	global_load_dwordx2 v[27:28], v6, s[26:27] offset:24 glc dlc
	s_waitcnt vmcnt(0)
	buffer_gl1_inv
	buffer_gl0_inv
	s_clause 0x1
	global_load_dwordx2 v[4:5], v6, s[26:27] offset:40
	global_load_dwordx2 v[9:10], v6, s[26:27]
	s_mov_b32 s18, exec_lo
	s_waitcnt vmcnt(1)
	v_and_b32_e32 v5, v5, v28
	v_and_b32_e32 v4, v4, v27
	v_mul_lo_u32 v5, v5, 24
	v_mul_hi_u32 v25, v4, 24
	v_mul_lo_u32 v4, v4, 24
	v_add_nc_u32_e32 v5, v25, v5
	s_waitcnt vmcnt(0)
	v_add_co_u32 v4, vcc_lo, v9, v4
	v_add_co_ci_u32_e32 v5, vcc_lo, v10, v5, vcc_lo
	global_load_dwordx2 v[25:26], v[4:5], off glc dlc
	s_waitcnt vmcnt(0)
	global_atomic_cmpswap_x2 v[4:5], v6, v[25:28], s[26:27] offset:24 glc
	s_waitcnt vmcnt(0)
	buffer_gl1_inv
	buffer_gl0_inv
	v_cmpx_ne_u64_e64 v[4:5], v[27:28]
	s_cbranch_execz .LBB3_1050
; %bb.1047:                             ;   in Loop: Header=BB3_996 Depth=1
	s_mov_b32 s19, 0
	.p2align	6
.LBB3_1048:                             ;   Parent Loop BB3_996 Depth=1
                                        ; =>  This Inner Loop Header: Depth=2
	s_sleep 1
	s_clause 0x1
	global_load_dwordx2 v[9:10], v6, s[26:27] offset:40
	global_load_dwordx2 v[25:26], v6, s[26:27]
	v_mov_b32_e32 v28, v5
	v_mov_b32_e32 v27, v4
	s_waitcnt vmcnt(1)
	v_and_b32_e32 v4, v9, v27
	v_and_b32_e32 v9, v10, v28
	s_waitcnt vmcnt(0)
	v_mad_u64_u32 v[4:5], null, v4, 24, v[25:26]
	v_mad_u64_u32 v[9:10], null, v9, 24, v[5:6]
	v_mov_b32_e32 v5, v9
	global_load_dwordx2 v[25:26], v[4:5], off glc dlc
	s_waitcnt vmcnt(0)
	global_atomic_cmpswap_x2 v[4:5], v6, v[25:28], s[26:27] offset:24 glc
	s_waitcnt vmcnt(0)
	buffer_gl1_inv
	buffer_gl0_inv
	v_cmp_eq_u64_e32 vcc_lo, v[4:5], v[27:28]
	s_or_b32 s19, vcc_lo, s19
	s_andn2_b32 exec_lo, exec_lo, s19
	s_cbranch_execnz .LBB3_1048
; %bb.1049:                             ;   in Loop: Header=BB3_996 Depth=1
	s_or_b32 exec_lo, exec_lo, s19
.LBB3_1050:                             ;   in Loop: Header=BB3_996 Depth=1
	s_or_b32 exec_lo, exec_lo, s18
.LBB3_1051:                             ;   in Loop: Header=BB3_996 Depth=1
	s_or_b32 exec_lo, exec_lo, s5
	s_clause 0x1
	global_load_dwordx2 v[9:10], v6, s[26:27] offset:40
	global_load_dwordx4 v[25:28], v6, s[26:27]
	v_readfirstlane_b32 s18, v4
	v_readfirstlane_b32 s19, v5
	s_mov_b32 s5, exec_lo
	s_waitcnt vmcnt(1)
	v_readfirstlane_b32 s20, v9
	v_readfirstlane_b32 s21, v10
	s_and_b64 s[20:21], s[18:19], s[20:21]
	s_mul_i32 s22, s21, 24
	s_mul_hi_u32 s23, s20, 24
	s_mul_i32 s24, s20, 24
	s_add_i32 s23, s23, s22
	s_waitcnt vmcnt(0)
	v_add_co_u32 v29, vcc_lo, v25, s24
	v_add_co_ci_u32_e32 v30, vcc_lo, s23, v26, vcc_lo
	s_and_saveexec_b32 s22, s4
	s_cbranch_execz .LBB3_1053
; %bb.1052:                             ;   in Loop: Header=BB3_996 Depth=1
	v_mov_b32_e32 v5, s5
	global_store_dwordx4 v[29:30], v[5:8], off offset:8
.LBB3_1053:                             ;   in Loop: Header=BB3_996 Depth=1
	s_or_b32 exec_lo, exec_lo, s22
	s_lshl_b64 s[20:21], s[20:21], 12
	v_cmp_gt_u64_e64 vcc_lo, s[10:11], 56
	v_or_b32_e32 v5, v2, v31
	v_add_co_u32 v27, s5, v27, s20
	v_add_co_ci_u32_e64 v28, s5, s21, v28, s5
	s_lshl_b32 s5, s16, 2
	v_or_b32_e32 v4, 0, v3
	v_cndmask_b32_e32 v2, v5, v2, vcc_lo
	s_add_i32 s5, s5, 28
	v_readfirstlane_b32 s20, v27
	s_and_b32 s5, s5, 0x1e0
	v_cndmask_b32_e32 v10, v4, v3, vcc_lo
	v_readfirstlane_b32 s21, v28
	v_and_or_b32 v9, 0xffffff1f, v2, s5
	global_store_dwordx4 v39, v[9:12], s[20:21]
	global_store_dwordx4 v39, v[13:16], s[20:21] offset:16
	global_store_dwordx4 v39, v[17:20], s[20:21] offset:32
	;; [unrolled: 1-line block ×3, first 2 shown]
	s_and_saveexec_b32 s5, s4
	s_cbranch_execz .LBB3_1061
; %bb.1054:                             ;   in Loop: Header=BB3_996 Depth=1
	s_clause 0x1
	global_load_dwordx2 v[13:14], v6, s[26:27] offset:32 glc dlc
	global_load_dwordx2 v[2:3], v6, s[26:27] offset:40
	v_mov_b32_e32 v11, s18
	v_mov_b32_e32 v12, s19
	s_waitcnt vmcnt(0)
	v_readfirstlane_b32 s20, v2
	v_readfirstlane_b32 s21, v3
	s_and_b64 s[20:21], s[20:21], s[18:19]
	s_mul_i32 s21, s21, 24
	s_mul_hi_u32 s22, s20, 24
	s_mul_i32 s20, s20, 24
	s_add_i32 s22, s22, s21
	v_add_co_u32 v9, vcc_lo, v25, s20
	v_add_co_ci_u32_e32 v10, vcc_lo, s22, v26, vcc_lo
	s_mov_b32 s20, exec_lo
	global_store_dwordx2 v[9:10], v[13:14], off
	s_waitcnt_vscnt null, 0x0
	global_atomic_cmpswap_x2 v[4:5], v6, v[11:14], s[26:27] offset:32 glc
	s_waitcnt vmcnt(0)
	v_cmpx_ne_u64_e64 v[4:5], v[13:14]
	s_cbranch_execz .LBB3_1057
; %bb.1055:                             ;   in Loop: Header=BB3_996 Depth=1
	s_mov_b32 s21, 0
.LBB3_1056:                             ;   Parent Loop BB3_996 Depth=1
                                        ; =>  This Inner Loop Header: Depth=2
	v_mov_b32_e32 v2, s18
	v_mov_b32_e32 v3, s19
	s_sleep 1
	global_store_dwordx2 v[9:10], v[4:5], off
	s_waitcnt_vscnt null, 0x0
	global_atomic_cmpswap_x2 v[2:3], v6, v[2:5], s[26:27] offset:32 glc
	s_waitcnt vmcnt(0)
	v_cmp_eq_u64_e32 vcc_lo, v[2:3], v[4:5]
	v_mov_b32_e32 v5, v3
	v_mov_b32_e32 v4, v2
	s_or_b32 s21, vcc_lo, s21
	s_andn2_b32 exec_lo, exec_lo, s21
	s_cbranch_execnz .LBB3_1056
.LBB3_1057:                             ;   in Loop: Header=BB3_996 Depth=1
	s_or_b32 exec_lo, exec_lo, s20
	global_load_dwordx2 v[2:3], v6, s[26:27] offset:16
	s_mov_b32 s21, exec_lo
	s_mov_b32 s20, exec_lo
	v_mbcnt_lo_u32_b32 v4, s21, 0
	v_cmpx_eq_u32_e32 0, v4
	s_cbranch_execz .LBB3_1059
; %bb.1058:                             ;   in Loop: Header=BB3_996 Depth=1
	s_bcnt1_i32_b32 s21, s21
	v_mov_b32_e32 v5, s21
	s_waitcnt vmcnt(0)
	global_atomic_add_x2 v[2:3], v[5:6], off offset:8
.LBB3_1059:                             ;   in Loop: Header=BB3_996 Depth=1
	s_or_b32 exec_lo, exec_lo, s20
	s_waitcnt vmcnt(0)
	global_load_dwordx2 v[9:10], v[2:3], off offset:16
	s_waitcnt vmcnt(0)
	v_cmp_eq_u64_e32 vcc_lo, 0, v[9:10]
	s_cbranch_vccnz .LBB3_1061
; %bb.1060:                             ;   in Loop: Header=BB3_996 Depth=1
	global_load_dword v5, v[2:3], off offset:24
	s_waitcnt vmcnt(0)
	v_and_b32_e32 v2, 0x7fffff, v5
	s_waitcnt_vscnt null, 0x0
	global_store_dwordx2 v[9:10], v[5:6], off
	v_readfirstlane_b32 m0, v2
	s_sendmsg sendmsg(MSG_INTERRUPT)
.LBB3_1061:                             ;   in Loop: Header=BB3_996 Depth=1
	s_or_b32 exec_lo, exec_lo, s5
	v_add_co_u32 v2, vcc_lo, v27, v39
	v_add_co_ci_u32_e32 v3, vcc_lo, 0, v28, vcc_lo
	s_branch .LBB3_1065
	.p2align	6
.LBB3_1062:                             ;   in Loop: Header=BB3_1065 Depth=2
	s_or_b32 exec_lo, exec_lo, s5
	v_readfirstlane_b32 s5, v4
	s_cmp_eq_u32 s5, 0
	s_cbranch_scc1 .LBB3_1064
; %bb.1063:                             ;   in Loop: Header=BB3_1065 Depth=2
	s_sleep 1
	s_cbranch_execnz .LBB3_1065
	s_branch .LBB3_1067
	.p2align	6
.LBB3_1064:                             ;   in Loop: Header=BB3_996 Depth=1
	s_branch .LBB3_1067
.LBB3_1065:                             ;   Parent Loop BB3_996 Depth=1
                                        ; =>  This Inner Loop Header: Depth=2
	v_mov_b32_e32 v4, 1
	s_and_saveexec_b32 s5, s4
	s_cbranch_execz .LBB3_1062
; %bb.1066:                             ;   in Loop: Header=BB3_1065 Depth=2
	global_load_dword v4, v[29:30], off offset:20 glc dlc
	s_waitcnt vmcnt(0)
	buffer_gl1_inv
	buffer_gl0_inv
	v_and_b32_e32 v4, 1, v4
	s_branch .LBB3_1062
.LBB3_1067:                             ;   in Loop: Header=BB3_996 Depth=1
	global_load_dwordx4 v[2:5], v[2:3], off
	s_and_saveexec_b32 s5, s4
	s_cbranch_execz .LBB3_995
; %bb.1068:                             ;   in Loop: Header=BB3_996 Depth=1
	s_clause 0x2
	global_load_dwordx2 v[4:5], v6, s[26:27] offset:40
	global_load_dwordx2 v[13:14], v6, s[26:27] offset:24 glc dlc
	global_load_dwordx2 v[11:12], v6, s[26:27]
	s_waitcnt vmcnt(2)
	v_add_co_u32 v15, vcc_lo, v4, 1
	v_add_co_ci_u32_e32 v16, vcc_lo, 0, v5, vcc_lo
	v_add_co_u32 v9, vcc_lo, v15, s18
	v_add_co_ci_u32_e32 v10, vcc_lo, s19, v16, vcc_lo
	v_cmp_eq_u64_e32 vcc_lo, 0, v[9:10]
	v_cndmask_b32_e32 v10, v10, v16, vcc_lo
	v_cndmask_b32_e32 v9, v9, v15, vcc_lo
	v_and_b32_e32 v5, v10, v5
	v_and_b32_e32 v4, v9, v4
	v_mul_lo_u32 v5, v5, 24
	v_mul_hi_u32 v15, v4, 24
	v_mul_lo_u32 v4, v4, 24
	v_add_nc_u32_e32 v5, v15, v5
	s_waitcnt vmcnt(0)
	v_add_co_u32 v4, vcc_lo, v11, v4
	v_mov_b32_e32 v11, v13
	v_add_co_ci_u32_e32 v5, vcc_lo, v12, v5, vcc_lo
	v_mov_b32_e32 v12, v14
	global_store_dwordx2 v[4:5], v[13:14], off
	s_waitcnt_vscnt null, 0x0
	global_atomic_cmpswap_x2 v[11:12], v6, v[9:12], s[26:27] offset:24 glc
	s_waitcnt vmcnt(0)
	v_cmp_ne_u64_e32 vcc_lo, v[11:12], v[13:14]
	s_and_b32 exec_lo, exec_lo, vcc_lo
	s_cbranch_execz .LBB3_995
; %bb.1069:                             ;   in Loop: Header=BB3_996 Depth=1
	s_mov_b32 s4, 0
.LBB3_1070:                             ;   Parent Loop BB3_996 Depth=1
                                        ; =>  This Inner Loop Header: Depth=2
	s_sleep 1
	global_store_dwordx2 v[4:5], v[11:12], off
	s_waitcnt_vscnt null, 0x0
	global_atomic_cmpswap_x2 v[13:14], v6, v[9:12], s[26:27] offset:24 glc
	s_waitcnt vmcnt(0)
	v_cmp_eq_u64_e32 vcc_lo, v[13:14], v[11:12]
	v_mov_b32_e32 v11, v13
	v_mov_b32_e32 v12, v14
	s_or_b32 s4, vcc_lo, s4
	s_andn2_b32 exec_lo, exec_lo, s4
	s_cbranch_execnz .LBB3_1070
	s_branch .LBB3_995
.LBB3_1071:
	s_branch .LBB3_1100
.LBB3_1072:
                                        ; implicit-def: $vgpr2_vgpr3
	s_cbranch_execz .LBB3_1100
; %bb.1073:
	v_readfirstlane_b32 s4, v50
	v_mov_b32_e32 v8, 0
	v_mov_b32_e32 v9, 0
	v_cmp_eq_u32_e64 s4, s4, v50
	s_and_saveexec_b32 s5, s4
	s_cbranch_execz .LBB3_1079
; %bb.1074:
	s_waitcnt vmcnt(0)
	v_mov_b32_e32 v2, 0
	s_mov_b32 s6, exec_lo
	global_load_dwordx2 v[5:6], v2, s[26:27] offset:24 glc dlc
	s_waitcnt vmcnt(0)
	buffer_gl1_inv
	buffer_gl0_inv
	s_clause 0x1
	global_load_dwordx2 v[3:4], v2, s[26:27] offset:40
	global_load_dwordx2 v[7:8], v2, s[26:27]
	s_waitcnt vmcnt(1)
	v_and_b32_e32 v4, v4, v6
	v_and_b32_e32 v3, v3, v5
	v_mul_lo_u32 v4, v4, 24
	v_mul_hi_u32 v9, v3, 24
	v_mul_lo_u32 v3, v3, 24
	v_add_nc_u32_e32 v4, v9, v4
	s_waitcnt vmcnt(0)
	v_add_co_u32 v3, vcc_lo, v7, v3
	v_add_co_ci_u32_e32 v4, vcc_lo, v8, v4, vcc_lo
	global_load_dwordx2 v[3:4], v[3:4], off glc dlc
	s_waitcnt vmcnt(0)
	global_atomic_cmpswap_x2 v[8:9], v2, v[3:6], s[26:27] offset:24 glc
	s_waitcnt vmcnt(0)
	buffer_gl1_inv
	buffer_gl0_inv
	v_cmpx_ne_u64_e64 v[8:9], v[5:6]
	s_cbranch_execz .LBB3_1078
; %bb.1075:
	s_mov_b32 s7, 0
	.p2align	6
.LBB3_1076:                             ; =>This Inner Loop Header: Depth=1
	s_sleep 1
	s_clause 0x1
	global_load_dwordx2 v[3:4], v2, s[26:27] offset:40
	global_load_dwordx2 v[10:11], v2, s[26:27]
	v_mov_b32_e32 v5, v8
	v_mov_b32_e32 v6, v9
	s_waitcnt vmcnt(1)
	v_and_b32_e32 v3, v3, v5
	v_and_b32_e32 v4, v4, v6
	s_waitcnt vmcnt(0)
	v_mad_u64_u32 v[7:8], null, v3, 24, v[10:11]
	v_mov_b32_e32 v3, v8
	v_mad_u64_u32 v[3:4], null, v4, 24, v[3:4]
	v_mov_b32_e32 v8, v3
	global_load_dwordx2 v[3:4], v[7:8], off glc dlc
	s_waitcnt vmcnt(0)
	global_atomic_cmpswap_x2 v[8:9], v2, v[3:6], s[26:27] offset:24 glc
	s_waitcnt vmcnt(0)
	buffer_gl1_inv
	buffer_gl0_inv
	v_cmp_eq_u64_e32 vcc_lo, v[8:9], v[5:6]
	s_or_b32 s7, vcc_lo, s7
	s_andn2_b32 exec_lo, exec_lo, s7
	s_cbranch_execnz .LBB3_1076
; %bb.1077:
	s_or_b32 exec_lo, exec_lo, s7
.LBB3_1078:
	s_or_b32 exec_lo, exec_lo, s6
.LBB3_1079:
	s_or_b32 exec_lo, exec_lo, s5
	s_waitcnt vmcnt(0)
	v_mov_b32_e32 v2, 0
	v_readfirstlane_b32 s6, v8
	v_readfirstlane_b32 s7, v9
	s_mov_b32 s5, exec_lo
	s_clause 0x1
	global_load_dwordx2 v[10:11], v2, s[26:27] offset:40
	global_load_dwordx4 v[4:7], v2, s[26:27]
	s_waitcnt vmcnt(1)
	v_readfirstlane_b32 s10, v10
	v_readfirstlane_b32 s11, v11
	s_and_b64 s[10:11], s[6:7], s[10:11]
	s_mul_i32 s16, s11, 24
	s_mul_hi_u32 s17, s10, 24
	s_mul_i32 s18, s10, 24
	s_add_i32 s17, s17, s16
	s_waitcnt vmcnt(0)
	v_add_co_u32 v8, vcc_lo, v4, s18
	v_add_co_ci_u32_e32 v9, vcc_lo, s17, v5, vcc_lo
	s_and_saveexec_b32 s16, s4
	s_cbranch_execz .LBB3_1081
; %bb.1080:
	v_mov_b32_e32 v10, s5
	v_mov_b32_e32 v11, v2
	;; [unrolled: 1-line block ×4, first 2 shown]
	global_store_dwordx4 v[8:9], v[10:13], off offset:8
.LBB3_1081:
	s_or_b32 exec_lo, exec_lo, s16
	s_lshl_b64 s[10:11], s[10:11], 12
	s_mov_b32 s16, 0
	v_add_co_u32 v6, vcc_lo, v6, s10
	v_add_co_ci_u32_e32 v7, vcc_lo, s11, v7, vcc_lo
	s_mov_b32 s17, s16
	v_readfirstlane_b32 s10, v6
	v_add_co_u32 v6, vcc_lo, v6, v39
	s_mov_b32 s18, s16
	s_mov_b32 s19, s16
	v_and_or_b32 v0, 0xffffff1f, v0, 32
	v_mov_b32_e32 v3, v2
	v_readfirstlane_b32 s11, v7
	v_mov_b32_e32 v10, s16
	v_add_co_ci_u32_e32 v7, vcc_lo, 0, v7, vcc_lo
	v_mov_b32_e32 v11, s17
	v_mov_b32_e32 v12, s18
	v_mov_b32_e32 v13, s19
	global_store_dwordx4 v39, v[0:3], s[10:11]
	global_store_dwordx4 v39, v[10:13], s[10:11] offset:16
	global_store_dwordx4 v39, v[10:13], s[10:11] offset:32
	;; [unrolled: 1-line block ×3, first 2 shown]
	s_and_saveexec_b32 s5, s4
	s_cbranch_execz .LBB3_1089
; %bb.1082:
	v_mov_b32_e32 v10, 0
	v_mov_b32_e32 v11, s6
	;; [unrolled: 1-line block ×3, first 2 shown]
	s_clause 0x1
	global_load_dwordx2 v[13:14], v10, s[26:27] offset:32 glc dlc
	global_load_dwordx2 v[0:1], v10, s[26:27] offset:40
	s_waitcnt vmcnt(0)
	v_readfirstlane_b32 s10, v0
	v_readfirstlane_b32 s11, v1
	s_and_b64 s[10:11], s[10:11], s[6:7]
	s_mul_i32 s11, s11, 24
	s_mul_hi_u32 s16, s10, 24
	s_mul_i32 s10, s10, 24
	s_add_i32 s16, s16, s11
	v_add_co_u32 v4, vcc_lo, v4, s10
	v_add_co_ci_u32_e32 v5, vcc_lo, s16, v5, vcc_lo
	s_mov_b32 s10, exec_lo
	global_store_dwordx2 v[4:5], v[13:14], off
	s_waitcnt_vscnt null, 0x0
	global_atomic_cmpswap_x2 v[2:3], v10, v[11:14], s[26:27] offset:32 glc
	s_waitcnt vmcnt(0)
	v_cmpx_ne_u64_e64 v[2:3], v[13:14]
	s_cbranch_execz .LBB3_1085
; %bb.1083:
	s_mov_b32 s11, 0
.LBB3_1084:                             ; =>This Inner Loop Header: Depth=1
	v_mov_b32_e32 v0, s6
	v_mov_b32_e32 v1, s7
	s_sleep 1
	global_store_dwordx2 v[4:5], v[2:3], off
	s_waitcnt_vscnt null, 0x0
	global_atomic_cmpswap_x2 v[0:1], v10, v[0:3], s[26:27] offset:32 glc
	s_waitcnt vmcnt(0)
	v_cmp_eq_u64_e32 vcc_lo, v[0:1], v[2:3]
	v_mov_b32_e32 v3, v1
	v_mov_b32_e32 v2, v0
	s_or_b32 s11, vcc_lo, s11
	s_andn2_b32 exec_lo, exec_lo, s11
	s_cbranch_execnz .LBB3_1084
.LBB3_1085:
	s_or_b32 exec_lo, exec_lo, s10
	v_mov_b32_e32 v3, 0
	s_mov_b32 s11, exec_lo
	s_mov_b32 s10, exec_lo
	v_mbcnt_lo_u32_b32 v2, s11, 0
	global_load_dwordx2 v[0:1], v3, s[26:27] offset:16
	v_cmpx_eq_u32_e32 0, v2
	s_cbranch_execz .LBB3_1087
; %bb.1086:
	s_bcnt1_i32_b32 s11, s11
	v_mov_b32_e32 v2, s11
	s_waitcnt vmcnt(0)
	global_atomic_add_x2 v[0:1], v[2:3], off offset:8
.LBB3_1087:
	s_or_b32 exec_lo, exec_lo, s10
	s_waitcnt vmcnt(0)
	global_load_dwordx2 v[2:3], v[0:1], off offset:16
	s_waitcnt vmcnt(0)
	v_cmp_eq_u64_e32 vcc_lo, 0, v[2:3]
	s_cbranch_vccnz .LBB3_1089
; %bb.1088:
	global_load_dword v0, v[0:1], off offset:24
	v_mov_b32_e32 v1, 0
	s_waitcnt vmcnt(0)
	v_and_b32_e32 v4, 0x7fffff, v0
	s_waitcnt_vscnt null, 0x0
	global_store_dwordx2 v[2:3], v[0:1], off
	v_readfirstlane_b32 m0, v4
	s_sendmsg sendmsg(MSG_INTERRUPT)
.LBB3_1089:
	s_or_b32 exec_lo, exec_lo, s5
	s_branch .LBB3_1093
	.p2align	6
.LBB3_1090:                             ;   in Loop: Header=BB3_1093 Depth=1
	s_or_b32 exec_lo, exec_lo, s5
	v_readfirstlane_b32 s5, v0
	s_cmp_eq_u32 s5, 0
	s_cbranch_scc1 .LBB3_1092
; %bb.1091:                             ;   in Loop: Header=BB3_1093 Depth=1
	s_sleep 1
	s_cbranch_execnz .LBB3_1093
	s_branch .LBB3_1095
	.p2align	6
.LBB3_1092:
	s_branch .LBB3_1095
.LBB3_1093:                             ; =>This Inner Loop Header: Depth=1
	v_mov_b32_e32 v0, 1
	s_and_saveexec_b32 s5, s4
	s_cbranch_execz .LBB3_1090
; %bb.1094:                             ;   in Loop: Header=BB3_1093 Depth=1
	global_load_dword v0, v[8:9], off offset:20 glc dlc
	s_waitcnt vmcnt(0)
	buffer_gl1_inv
	buffer_gl0_inv
	v_and_b32_e32 v0, 1, v0
	s_branch .LBB3_1090
.LBB3_1095:
	global_load_dwordx2 v[2:3], v[6:7], off
	s_and_saveexec_b32 s5, s4
	s_cbranch_execz .LBB3_1099
; %bb.1096:
	v_mov_b32_e32 v8, 0
	s_clause 0x2
	global_load_dwordx2 v[0:1], v8, s[26:27] offset:40
	global_load_dwordx2 v[9:10], v8, s[26:27] offset:24 glc dlc
	global_load_dwordx2 v[6:7], v8, s[26:27]
	s_waitcnt vmcnt(2)
	v_add_co_u32 v11, vcc_lo, v0, 1
	v_add_co_ci_u32_e32 v12, vcc_lo, 0, v1, vcc_lo
	v_add_co_u32 v4, vcc_lo, v11, s6
	v_add_co_ci_u32_e32 v5, vcc_lo, s7, v12, vcc_lo
	v_cmp_eq_u64_e32 vcc_lo, 0, v[4:5]
	v_cndmask_b32_e32 v5, v5, v12, vcc_lo
	v_cndmask_b32_e32 v4, v4, v11, vcc_lo
	v_and_b32_e32 v1, v5, v1
	v_and_b32_e32 v0, v4, v0
	v_mul_lo_u32 v1, v1, 24
	v_mul_hi_u32 v11, v0, 24
	v_mul_lo_u32 v0, v0, 24
	v_add_nc_u32_e32 v1, v11, v1
	s_waitcnt vmcnt(0)
	v_add_co_u32 v0, vcc_lo, v6, v0
	v_mov_b32_e32 v6, v9
	v_add_co_ci_u32_e32 v1, vcc_lo, v7, v1, vcc_lo
	v_mov_b32_e32 v7, v10
	global_store_dwordx2 v[0:1], v[9:10], off
	s_waitcnt_vscnt null, 0x0
	global_atomic_cmpswap_x2 v[6:7], v8, v[4:7], s[26:27] offset:24 glc
	s_waitcnt vmcnt(0)
	v_cmp_ne_u64_e32 vcc_lo, v[6:7], v[9:10]
	s_and_b32 exec_lo, exec_lo, vcc_lo
	s_cbranch_execz .LBB3_1099
; %bb.1097:
	s_mov_b32 s4, 0
.LBB3_1098:                             ; =>This Inner Loop Header: Depth=1
	s_sleep 1
	global_store_dwordx2 v[0:1], v[6:7], off
	s_waitcnt_vscnt null, 0x0
	global_atomic_cmpswap_x2 v[9:10], v8, v[4:7], s[26:27] offset:24 glc
	s_waitcnt vmcnt(0)
	v_cmp_eq_u64_e32 vcc_lo, v[9:10], v[6:7]
	v_mov_b32_e32 v6, v9
	v_mov_b32_e32 v7, v10
	s_or_b32 s4, vcc_lo, s4
	s_andn2_b32 exec_lo, exec_lo, s4
	s_cbranch_execnz .LBB3_1098
.LBB3_1099:
	s_or_b32 exec_lo, exec_lo, s5
.LBB3_1100:
	v_readfirstlane_b32 s4, v50
	s_waitcnt vmcnt(0)
	v_mov_b32_e32 v0, 0
	v_mov_b32_e32 v1, 0
	v_cmp_eq_u32_e64 s4, s4, v50
	s_and_saveexec_b32 s5, s4
	s_cbranch_execz .LBB3_1106
; %bb.1101:
	v_mov_b32_e32 v4, 0
	s_mov_b32 s6, exec_lo
	global_load_dwordx2 v[7:8], v4, s[26:27] offset:24 glc dlc
	s_waitcnt vmcnt(0)
	buffer_gl1_inv
	buffer_gl0_inv
	s_clause 0x1
	global_load_dwordx2 v[0:1], v4, s[26:27] offset:40
	global_load_dwordx2 v[5:6], v4, s[26:27]
	s_waitcnt vmcnt(1)
	v_and_b32_e32 v1, v1, v8
	v_and_b32_e32 v0, v0, v7
	v_mul_lo_u32 v1, v1, 24
	v_mul_hi_u32 v9, v0, 24
	v_mul_lo_u32 v0, v0, 24
	v_add_nc_u32_e32 v1, v9, v1
	s_waitcnt vmcnt(0)
	v_add_co_u32 v0, vcc_lo, v5, v0
	v_add_co_ci_u32_e32 v1, vcc_lo, v6, v1, vcc_lo
	global_load_dwordx2 v[5:6], v[0:1], off glc dlc
	s_waitcnt vmcnt(0)
	global_atomic_cmpswap_x2 v[0:1], v4, v[5:8], s[26:27] offset:24 glc
	s_waitcnt vmcnt(0)
	buffer_gl1_inv
	buffer_gl0_inv
	v_cmpx_ne_u64_e64 v[0:1], v[7:8]
	s_cbranch_execz .LBB3_1105
; %bb.1102:
	s_mov_b32 s7, 0
	.p2align	6
.LBB3_1103:                             ; =>This Inner Loop Header: Depth=1
	s_sleep 1
	s_clause 0x1
	global_load_dwordx2 v[5:6], v4, s[26:27] offset:40
	global_load_dwordx2 v[9:10], v4, s[26:27]
	v_mov_b32_e32 v8, v1
	v_mov_b32_e32 v7, v0
	s_waitcnt vmcnt(1)
	v_and_b32_e32 v0, v5, v7
	v_and_b32_e32 v5, v6, v8
	s_waitcnt vmcnt(0)
	v_mad_u64_u32 v[0:1], null, v0, 24, v[9:10]
	v_mad_u64_u32 v[5:6], null, v5, 24, v[1:2]
	v_mov_b32_e32 v1, v5
	global_load_dwordx2 v[5:6], v[0:1], off glc dlc
	s_waitcnt vmcnt(0)
	global_atomic_cmpswap_x2 v[0:1], v4, v[5:8], s[26:27] offset:24 glc
	s_waitcnt vmcnt(0)
	buffer_gl1_inv
	buffer_gl0_inv
	v_cmp_eq_u64_e32 vcc_lo, v[0:1], v[7:8]
	s_or_b32 s7, vcc_lo, s7
	s_andn2_b32 exec_lo, exec_lo, s7
	s_cbranch_execnz .LBB3_1103
; %bb.1104:
	s_or_b32 exec_lo, exec_lo, s7
.LBB3_1105:
	s_or_b32 exec_lo, exec_lo, s6
.LBB3_1106:
	s_or_b32 exec_lo, exec_lo, s5
	v_mov_b32_e32 v5, 0
	v_readfirstlane_b32 s6, v0
	v_readfirstlane_b32 s7, v1
	s_mov_b32 s5, exec_lo
	s_clause 0x1
	global_load_dwordx2 v[10:11], v5, s[26:27] offset:40
	global_load_dwordx4 v[6:9], v5, s[26:27]
	s_waitcnt vmcnt(1)
	v_readfirstlane_b32 s10, v10
	v_readfirstlane_b32 s11, v11
	s_and_b64 s[10:11], s[6:7], s[10:11]
	s_mul_i32 s16, s11, 24
	s_mul_hi_u32 s17, s10, 24
	s_mul_i32 s18, s10, 24
	s_add_i32 s17, s17, s16
	s_waitcnt vmcnt(0)
	v_add_co_u32 v10, vcc_lo, v6, s18
	v_add_co_ci_u32_e32 v11, vcc_lo, s17, v7, vcc_lo
	s_and_saveexec_b32 s16, s4
	s_cbranch_execz .LBB3_1108
; %bb.1107:
	v_mov_b32_e32 v4, s5
	v_mov_b32_e32 v13, v5
	;; [unrolled: 1-line block ×5, first 2 shown]
	global_store_dwordx4 v[10:11], v[12:15], off offset:8
.LBB3_1108:
	s_or_b32 exec_lo, exec_lo, s16
	s_lshl_b64 s[10:11], s[10:11], 12
	s_mov_b32 s16, 0
	v_add_co_u32 v0, vcc_lo, v8, s10
	v_add_co_ci_u32_e32 v1, vcc_lo, s11, v9, vcc_lo
	s_mov_b32 s17, s16
	s_mov_b32 s18, s16
	s_mov_b32 s19, s16
	v_and_or_b32 v2, 0xffffff1d, v2, 34
	v_mov_b32_e32 v4, 58
	v_readfirstlane_b32 s10, v0
	v_readfirstlane_b32 s11, v1
	v_mov_b32_e32 v12, s16
	v_mov_b32_e32 v13, s17
	v_mov_b32_e32 v14, s18
	v_mov_b32_e32 v15, s19
	global_store_dwordx4 v39, v[2:5], s[10:11]
	global_store_dwordx4 v39, v[12:15], s[10:11] offset:16
	global_store_dwordx4 v39, v[12:15], s[10:11] offset:32
	;; [unrolled: 1-line block ×3, first 2 shown]
	s_and_saveexec_b32 s5, s4
	s_cbranch_execz .LBB3_1116
; %bb.1109:
	v_mov_b32_e32 v8, 0
	v_mov_b32_e32 v12, s6
	;; [unrolled: 1-line block ×3, first 2 shown]
	s_clause 0x1
	global_load_dwordx2 v[14:15], v8, s[26:27] offset:32 glc dlc
	global_load_dwordx2 v[0:1], v8, s[26:27] offset:40
	s_waitcnt vmcnt(0)
	v_readfirstlane_b32 s10, v0
	v_readfirstlane_b32 s11, v1
	s_and_b64 s[10:11], s[10:11], s[6:7]
	s_mul_i32 s11, s11, 24
	s_mul_hi_u32 s16, s10, 24
	s_mul_i32 s10, s10, 24
	s_add_i32 s16, s16, s11
	v_add_co_u32 v4, vcc_lo, v6, s10
	v_add_co_ci_u32_e32 v5, vcc_lo, s16, v7, vcc_lo
	s_mov_b32 s10, exec_lo
	global_store_dwordx2 v[4:5], v[14:15], off
	s_waitcnt_vscnt null, 0x0
	global_atomic_cmpswap_x2 v[2:3], v8, v[12:15], s[26:27] offset:32 glc
	s_waitcnt vmcnt(0)
	v_cmpx_ne_u64_e64 v[2:3], v[14:15]
	s_cbranch_execz .LBB3_1112
; %bb.1110:
	s_mov_b32 s11, 0
.LBB3_1111:                             ; =>This Inner Loop Header: Depth=1
	v_mov_b32_e32 v0, s6
	v_mov_b32_e32 v1, s7
	s_sleep 1
	global_store_dwordx2 v[4:5], v[2:3], off
	s_waitcnt_vscnt null, 0x0
	global_atomic_cmpswap_x2 v[0:1], v8, v[0:3], s[26:27] offset:32 glc
	s_waitcnt vmcnt(0)
	v_cmp_eq_u64_e32 vcc_lo, v[0:1], v[2:3]
	v_mov_b32_e32 v3, v1
	v_mov_b32_e32 v2, v0
	s_or_b32 s11, vcc_lo, s11
	s_andn2_b32 exec_lo, exec_lo, s11
	s_cbranch_execnz .LBB3_1111
.LBB3_1112:
	s_or_b32 exec_lo, exec_lo, s10
	v_mov_b32_e32 v3, 0
	s_mov_b32 s11, exec_lo
	s_mov_b32 s10, exec_lo
	v_mbcnt_lo_u32_b32 v2, s11, 0
	global_load_dwordx2 v[0:1], v3, s[26:27] offset:16
	v_cmpx_eq_u32_e32 0, v2
	s_cbranch_execz .LBB3_1114
; %bb.1113:
	s_bcnt1_i32_b32 s11, s11
	v_mov_b32_e32 v2, s11
	s_waitcnt vmcnt(0)
	global_atomic_add_x2 v[0:1], v[2:3], off offset:8
.LBB3_1114:
	s_or_b32 exec_lo, exec_lo, s10
	s_waitcnt vmcnt(0)
	global_load_dwordx2 v[2:3], v[0:1], off offset:16
	s_waitcnt vmcnt(0)
	v_cmp_eq_u64_e32 vcc_lo, 0, v[2:3]
	s_cbranch_vccnz .LBB3_1116
; %bb.1115:
	global_load_dword v0, v[0:1], off offset:24
	v_mov_b32_e32 v1, 0
	s_waitcnt vmcnt(0)
	v_and_b32_e32 v4, 0x7fffff, v0
	s_waitcnt_vscnt null, 0x0
	global_store_dwordx2 v[2:3], v[0:1], off
	v_readfirstlane_b32 m0, v4
	s_sendmsg sendmsg(MSG_INTERRUPT)
.LBB3_1116:
	s_or_b32 exec_lo, exec_lo, s5
	s_branch .LBB3_1120
	.p2align	6
.LBB3_1117:                             ;   in Loop: Header=BB3_1120 Depth=1
	s_or_b32 exec_lo, exec_lo, s5
	v_readfirstlane_b32 s5, v0
	s_cmp_eq_u32 s5, 0
	s_cbranch_scc1 .LBB3_1119
; %bb.1118:                             ;   in Loop: Header=BB3_1120 Depth=1
	s_sleep 1
	s_cbranch_execnz .LBB3_1120
	s_branch .LBB3_1122
	.p2align	6
.LBB3_1119:
	s_branch .LBB3_1122
.LBB3_1120:                             ; =>This Inner Loop Header: Depth=1
	v_mov_b32_e32 v0, 1
	s_and_saveexec_b32 s5, s4
	s_cbranch_execz .LBB3_1117
; %bb.1121:                             ;   in Loop: Header=BB3_1120 Depth=1
	global_load_dword v0, v[10:11], off offset:20 glc dlc
	s_waitcnt vmcnt(0)
	buffer_gl1_inv
	buffer_gl0_inv
	v_and_b32_e32 v0, 1, v0
	s_branch .LBB3_1117
.LBB3_1122:
	s_and_saveexec_b32 s5, s4
	s_cbranch_execz .LBB3_1126
; %bb.1123:
	v_mov_b32_e32 v6, 0
	s_clause 0x2
	global_load_dwordx2 v[2:3], v6, s[26:27] offset:40
	global_load_dwordx2 v[7:8], v6, s[26:27] offset:24 glc dlc
	global_load_dwordx2 v[4:5], v6, s[26:27]
	s_waitcnt vmcnt(2)
	v_add_co_u32 v9, vcc_lo, v2, 1
	v_add_co_ci_u32_e32 v10, vcc_lo, 0, v3, vcc_lo
	v_add_co_u32 v0, vcc_lo, v9, s6
	v_add_co_ci_u32_e32 v1, vcc_lo, s7, v10, vcc_lo
	v_cmp_eq_u64_e32 vcc_lo, 0, v[0:1]
	v_cndmask_b32_e32 v1, v1, v10, vcc_lo
	v_cndmask_b32_e32 v0, v0, v9, vcc_lo
	v_and_b32_e32 v3, v1, v3
	v_and_b32_e32 v2, v0, v2
	v_mul_lo_u32 v3, v3, 24
	v_mul_hi_u32 v9, v2, 24
	v_mul_lo_u32 v2, v2, 24
	v_add_nc_u32_e32 v3, v9, v3
	s_waitcnt vmcnt(0)
	v_add_co_u32 v4, vcc_lo, v4, v2
	v_mov_b32_e32 v2, v7
	v_add_co_ci_u32_e32 v5, vcc_lo, v5, v3, vcc_lo
	v_mov_b32_e32 v3, v8
	global_store_dwordx2 v[4:5], v[7:8], off
	s_waitcnt_vscnt null, 0x0
	global_atomic_cmpswap_x2 v[2:3], v6, v[0:3], s[26:27] offset:24 glc
	s_waitcnt vmcnt(0)
	v_cmp_ne_u64_e32 vcc_lo, v[2:3], v[7:8]
	s_and_b32 exec_lo, exec_lo, vcc_lo
	s_cbranch_execz .LBB3_1126
; %bb.1124:
	s_mov_b32 s4, 0
.LBB3_1125:                             ; =>This Inner Loop Header: Depth=1
	s_sleep 1
	global_store_dwordx2 v[4:5], v[2:3], off
	s_waitcnt_vscnt null, 0x0
	global_atomic_cmpswap_x2 v[7:8], v6, v[0:3], s[26:27] offset:24 glc
	s_waitcnt vmcnt(0)
	v_cmp_eq_u64_e32 vcc_lo, v[7:8], v[2:3]
	v_mov_b32_e32 v2, v7
	v_mov_b32_e32 v3, v8
	s_or_b32 s4, vcc_lo, s4
	s_andn2_b32 exec_lo, exec_lo, s4
	s_cbranch_execnz .LBB3_1125
.LBB3_1126:
	s_or_b32 exec_lo, exec_lo, s5
	v_readfirstlane_b32 s4, v50
	v_mov_b32_e32 v6, 0
	v_mov_b32_e32 v7, 0
	v_cmp_eq_u32_e64 s4, s4, v50
	s_and_saveexec_b32 s5, s4
	s_cbranch_execz .LBB3_1132
; %bb.1127:
	v_mov_b32_e32 v0, 0
	s_mov_b32 s6, exec_lo
	global_load_dwordx2 v[3:4], v0, s[26:27] offset:24 glc dlc
	s_waitcnt vmcnt(0)
	buffer_gl1_inv
	buffer_gl0_inv
	s_clause 0x1
	global_load_dwordx2 v[1:2], v0, s[26:27] offset:40
	global_load_dwordx2 v[5:6], v0, s[26:27]
	s_waitcnt vmcnt(1)
	v_and_b32_e32 v2, v2, v4
	v_and_b32_e32 v1, v1, v3
	v_mul_lo_u32 v2, v2, 24
	v_mul_hi_u32 v7, v1, 24
	v_mul_lo_u32 v1, v1, 24
	v_add_nc_u32_e32 v2, v7, v2
	s_waitcnt vmcnt(0)
	v_add_co_u32 v1, vcc_lo, v5, v1
	v_add_co_ci_u32_e32 v2, vcc_lo, v6, v2, vcc_lo
	global_load_dwordx2 v[1:2], v[1:2], off glc dlc
	s_waitcnt vmcnt(0)
	global_atomic_cmpswap_x2 v[6:7], v0, v[1:4], s[26:27] offset:24 glc
	s_waitcnt vmcnt(0)
	buffer_gl1_inv
	buffer_gl0_inv
	v_cmpx_ne_u64_e64 v[6:7], v[3:4]
	s_cbranch_execz .LBB3_1131
; %bb.1128:
	s_mov_b32 s7, 0
	.p2align	6
.LBB3_1129:                             ; =>This Inner Loop Header: Depth=1
	s_sleep 1
	s_clause 0x1
	global_load_dwordx2 v[1:2], v0, s[26:27] offset:40
	global_load_dwordx2 v[8:9], v0, s[26:27]
	v_mov_b32_e32 v3, v6
	v_mov_b32_e32 v4, v7
	s_waitcnt vmcnt(1)
	v_and_b32_e32 v1, v1, v3
	v_and_b32_e32 v2, v2, v4
	s_waitcnt vmcnt(0)
	v_mad_u64_u32 v[5:6], null, v1, 24, v[8:9]
	v_mov_b32_e32 v1, v6
	v_mad_u64_u32 v[1:2], null, v2, 24, v[1:2]
	v_mov_b32_e32 v6, v1
	global_load_dwordx2 v[1:2], v[5:6], off glc dlc
	s_waitcnt vmcnt(0)
	global_atomic_cmpswap_x2 v[6:7], v0, v[1:4], s[26:27] offset:24 glc
	s_waitcnt vmcnt(0)
	buffer_gl1_inv
	buffer_gl0_inv
	v_cmp_eq_u64_e32 vcc_lo, v[6:7], v[3:4]
	s_or_b32 s7, vcc_lo, s7
	s_andn2_b32 exec_lo, exec_lo, s7
	s_cbranch_execnz .LBB3_1129
; %bb.1130:
	s_or_b32 exec_lo, exec_lo, s7
.LBB3_1131:
	s_or_b32 exec_lo, exec_lo, s6
.LBB3_1132:
	s_or_b32 exec_lo, exec_lo, s5
	v_mov_b32_e32 v5, 0
	v_readfirstlane_b32 s6, v6
	v_readfirstlane_b32 s7, v7
	s_mov_b32 s5, exec_lo
	s_clause 0x1
	global_load_dwordx2 v[8:9], v5, s[26:27] offset:40
	global_load_dwordx4 v[0:3], v5, s[26:27]
	s_waitcnt vmcnt(1)
	v_readfirstlane_b32 s10, v8
	v_readfirstlane_b32 s11, v9
	s_and_b64 s[10:11], s[6:7], s[10:11]
	s_mul_i32 s16, s11, 24
	s_mul_hi_u32 s17, s10, 24
	s_mul_i32 s18, s10, 24
	s_add_i32 s17, s17, s16
	s_waitcnt vmcnt(0)
	v_add_co_u32 v8, vcc_lo, v0, s18
	v_add_co_ci_u32_e32 v9, vcc_lo, s17, v1, vcc_lo
	s_and_saveexec_b32 s16, s4
	s_cbranch_execz .LBB3_1134
; %bb.1133:
	v_mov_b32_e32 v4, s5
	v_mov_b32_e32 v6, 2
	;; [unrolled: 1-line block ×3, first 2 shown]
	global_store_dwordx4 v[8:9], v[4:7], off offset:8
.LBB3_1134:
	s_or_b32 exec_lo, exec_lo, s16
	s_lshl_b64 s[10:11], s[10:11], 12
	s_mov_b32 s16, 0
	v_add_co_u32 v2, vcc_lo, v2, s10
	v_add_co_ci_u32_e32 v3, vcc_lo, s11, v3, vcc_lo
	s_mov_b32 s17, s16
	v_add_co_u32 v10, vcc_lo, v2, v39
	s_mov_b32 s18, s16
	s_mov_b32 s19, s16
	v_mov_b32_e32 v4, 33
	v_mov_b32_e32 v6, v5
	;; [unrolled: 1-line block ×3, first 2 shown]
	v_readfirstlane_b32 s10, v2
	v_readfirstlane_b32 s11, v3
	v_mov_b32_e32 v12, s16
	v_add_co_ci_u32_e32 v11, vcc_lo, 0, v3, vcc_lo
	v_mov_b32_e32 v13, s17
	v_mov_b32_e32 v14, s18
	;; [unrolled: 1-line block ×3, first 2 shown]
	global_store_dwordx4 v39, v[4:7], s[10:11]
	global_store_dwordx4 v39, v[12:15], s[10:11] offset:16
	global_store_dwordx4 v39, v[12:15], s[10:11] offset:32
	global_store_dwordx4 v39, v[12:15], s[10:11] offset:48
	s_and_saveexec_b32 s5, s4
	s_cbranch_execz .LBB3_1142
; %bb.1135:
	v_mov_b32_e32 v6, 0
	v_mov_b32_e32 v12, s6
	;; [unrolled: 1-line block ×3, first 2 shown]
	s_clause 0x1
	global_load_dwordx2 v[14:15], v6, s[26:27] offset:32 glc dlc
	global_load_dwordx2 v[2:3], v6, s[26:27] offset:40
	s_waitcnt vmcnt(0)
	v_readfirstlane_b32 s10, v2
	v_readfirstlane_b32 s11, v3
	s_and_b64 s[10:11], s[10:11], s[6:7]
	s_mul_i32 s11, s11, 24
	s_mul_hi_u32 s16, s10, 24
	s_mul_i32 s10, s10, 24
	s_add_i32 s16, s16, s11
	v_add_co_u32 v4, vcc_lo, v0, s10
	v_add_co_ci_u32_e32 v5, vcc_lo, s16, v1, vcc_lo
	s_mov_b32 s10, exec_lo
	global_store_dwordx2 v[4:5], v[14:15], off
	s_waitcnt_vscnt null, 0x0
	global_atomic_cmpswap_x2 v[2:3], v6, v[12:15], s[26:27] offset:32 glc
	s_waitcnt vmcnt(0)
	v_cmpx_ne_u64_e64 v[2:3], v[14:15]
	s_cbranch_execz .LBB3_1138
; %bb.1136:
	s_mov_b32 s11, 0
.LBB3_1137:                             ; =>This Inner Loop Header: Depth=1
	v_mov_b32_e32 v0, s6
	v_mov_b32_e32 v1, s7
	s_sleep 1
	global_store_dwordx2 v[4:5], v[2:3], off
	s_waitcnt_vscnt null, 0x0
	global_atomic_cmpswap_x2 v[0:1], v6, v[0:3], s[26:27] offset:32 glc
	s_waitcnt vmcnt(0)
	v_cmp_eq_u64_e32 vcc_lo, v[0:1], v[2:3]
	v_mov_b32_e32 v3, v1
	v_mov_b32_e32 v2, v0
	s_or_b32 s11, vcc_lo, s11
	s_andn2_b32 exec_lo, exec_lo, s11
	s_cbranch_execnz .LBB3_1137
.LBB3_1138:
	s_or_b32 exec_lo, exec_lo, s10
	v_mov_b32_e32 v3, 0
	s_mov_b32 s11, exec_lo
	s_mov_b32 s10, exec_lo
	v_mbcnt_lo_u32_b32 v2, s11, 0
	global_load_dwordx2 v[0:1], v3, s[26:27] offset:16
	v_cmpx_eq_u32_e32 0, v2
	s_cbranch_execz .LBB3_1140
; %bb.1139:
	s_bcnt1_i32_b32 s11, s11
	v_mov_b32_e32 v2, s11
	s_waitcnt vmcnt(0)
	global_atomic_add_x2 v[0:1], v[2:3], off offset:8
.LBB3_1140:
	s_or_b32 exec_lo, exec_lo, s10
	s_waitcnt vmcnt(0)
	global_load_dwordx2 v[2:3], v[0:1], off offset:16
	s_waitcnt vmcnt(0)
	v_cmp_eq_u64_e32 vcc_lo, 0, v[2:3]
	s_cbranch_vccnz .LBB3_1142
; %bb.1141:
	global_load_dword v0, v[0:1], off offset:24
	v_mov_b32_e32 v1, 0
	s_waitcnt vmcnt(0)
	v_and_b32_e32 v4, 0x7fffff, v0
	s_waitcnt_vscnt null, 0x0
	global_store_dwordx2 v[2:3], v[0:1], off
	v_readfirstlane_b32 m0, v4
	s_sendmsg sendmsg(MSG_INTERRUPT)
.LBB3_1142:
	s_or_b32 exec_lo, exec_lo, s5
	s_branch .LBB3_1146
	.p2align	6
.LBB3_1143:                             ;   in Loop: Header=BB3_1146 Depth=1
	s_or_b32 exec_lo, exec_lo, s5
	v_readfirstlane_b32 s5, v0
	s_cmp_eq_u32 s5, 0
	s_cbranch_scc1 .LBB3_1145
; %bb.1144:                             ;   in Loop: Header=BB3_1146 Depth=1
	s_sleep 1
	s_cbranch_execnz .LBB3_1146
	s_branch .LBB3_1148
	.p2align	6
.LBB3_1145:
	s_branch .LBB3_1148
.LBB3_1146:                             ; =>This Inner Loop Header: Depth=1
	v_mov_b32_e32 v0, 1
	s_and_saveexec_b32 s5, s4
	s_cbranch_execz .LBB3_1143
; %bb.1147:                             ;   in Loop: Header=BB3_1146 Depth=1
	global_load_dword v0, v[8:9], off offset:20 glc dlc
	s_waitcnt vmcnt(0)
	buffer_gl1_inv
	buffer_gl0_inv
	v_and_b32_e32 v0, 1, v0
	s_branch .LBB3_1143
.LBB3_1148:
	global_load_dwordx2 v[0:1], v[10:11], off
	s_and_saveexec_b32 s5, s4
	s_cbranch_execz .LBB3_1152
; %bb.1149:
	v_mov_b32_e32 v8, 0
	s_clause 0x2
	global_load_dwordx2 v[4:5], v8, s[26:27] offset:40
	global_load_dwordx2 v[9:10], v8, s[26:27] offset:24 glc dlc
	global_load_dwordx2 v[6:7], v8, s[26:27]
	s_waitcnt vmcnt(2)
	v_add_co_u32 v11, vcc_lo, v4, 1
	v_add_co_ci_u32_e32 v12, vcc_lo, 0, v5, vcc_lo
	v_add_co_u32 v2, vcc_lo, v11, s6
	v_add_co_ci_u32_e32 v3, vcc_lo, s7, v12, vcc_lo
	v_cmp_eq_u64_e32 vcc_lo, 0, v[2:3]
	v_cndmask_b32_e32 v3, v3, v12, vcc_lo
	v_cndmask_b32_e32 v2, v2, v11, vcc_lo
	v_and_b32_e32 v5, v3, v5
	v_and_b32_e32 v4, v2, v4
	v_mul_lo_u32 v5, v5, 24
	v_mul_hi_u32 v11, v4, 24
	v_mul_lo_u32 v4, v4, 24
	v_add_nc_u32_e32 v5, v11, v5
	s_waitcnt vmcnt(0)
	v_add_co_u32 v6, vcc_lo, v6, v4
	v_mov_b32_e32 v4, v9
	v_add_co_ci_u32_e32 v7, vcc_lo, v7, v5, vcc_lo
	v_mov_b32_e32 v5, v10
	global_store_dwordx2 v[6:7], v[9:10], off
	s_waitcnt_vscnt null, 0x0
	global_atomic_cmpswap_x2 v[4:5], v8, v[2:5], s[26:27] offset:24 glc
	s_waitcnt vmcnt(0)
	v_cmp_ne_u64_e32 vcc_lo, v[4:5], v[9:10]
	s_and_b32 exec_lo, exec_lo, vcc_lo
	s_cbranch_execz .LBB3_1152
; %bb.1150:
	s_mov_b32 s4, 0
.LBB3_1151:                             ; =>This Inner Loop Header: Depth=1
	s_sleep 1
	global_store_dwordx2 v[6:7], v[4:5], off
	s_waitcnt_vscnt null, 0x0
	global_atomic_cmpswap_x2 v[9:10], v8, v[2:5], s[26:27] offset:24 glc
	s_waitcnt vmcnt(0)
	v_cmp_eq_u64_e32 vcc_lo, v[9:10], v[4:5]
	v_mov_b32_e32 v4, v9
	v_mov_b32_e32 v5, v10
	s_or_b32 s4, vcc_lo, s4
	s_andn2_b32 exec_lo, exec_lo, s4
	s_cbranch_execnz .LBB3_1151
.LBB3_1152:
	s_or_b32 exec_lo, exec_lo, s5
	s_and_b32 vcc_lo, exec_lo, s35
	s_cbranch_vccz .LBB3_1231
; %bb.1153:
	s_waitcnt vmcnt(0)
	v_and_b32_e32 v31, 2, v0
	v_mov_b32_e32 v6, 0
	v_and_b32_e32 v2, -3, v0
	v_mov_b32_e32 v3, v1
	v_mov_b32_e32 v7, 2
	;; [unrolled: 1-line block ×3, first 2 shown]
	s_mov_b64 s[10:11], 3
	s_getpc_b64 s[6:7]
	s_add_u32 s6, s6, .str.6@rel32@lo+4
	s_addc_u32 s7, s7, .str.6@rel32@hi+12
	s_branch .LBB3_1155
.LBB3_1154:                             ;   in Loop: Header=BB3_1155 Depth=1
	s_or_b32 exec_lo, exec_lo, s5
	s_sub_u32 s10, s10, s16
	s_subb_u32 s11, s11, s17
	s_add_u32 s6, s6, s16
	s_addc_u32 s7, s7, s17
	s_cmp_lg_u64 s[10:11], 0
	s_cbranch_scc0 .LBB3_1230
.LBB3_1155:                             ; =>This Loop Header: Depth=1
                                        ;     Child Loop BB3_1164 Depth 2
                                        ;     Child Loop BB3_1160 Depth 2
	;; [unrolled: 1-line block ×11, first 2 shown]
	v_cmp_lt_u64_e64 s4, s[10:11], 56
	v_cmp_gt_u64_e64 s5, s[10:11], 7
                                        ; implicit-def: $vgpr11_vgpr12
                                        ; implicit-def: $sgpr22
	s_and_b32 s4, s4, exec_lo
	s_cselect_b32 s17, s11, 0
	s_cselect_b32 s16, s10, 56
	s_and_b32 vcc_lo, exec_lo, s5
	s_mov_b32 s4, -1
	s_cbranch_vccz .LBB3_1162
; %bb.1156:                             ;   in Loop: Header=BB3_1155 Depth=1
	s_andn2_b32 vcc_lo, exec_lo, s4
	s_mov_b64 s[4:5], s[6:7]
	s_cbranch_vccz .LBB3_1166
.LBB3_1157:                             ;   in Loop: Header=BB3_1155 Depth=1
	s_cmp_gt_u32 s22, 7
	s_cbranch_scc1 .LBB3_1167
.LBB3_1158:                             ;   in Loop: Header=BB3_1155 Depth=1
	v_mov_b32_e32 v13, 0
	v_mov_b32_e32 v14, 0
	s_cmp_eq_u32 s22, 0
	s_cbranch_scc1 .LBB3_1161
; %bb.1159:                             ;   in Loop: Header=BB3_1155 Depth=1
	s_mov_b64 s[18:19], 0
	s_mov_b64 s[20:21], 0
.LBB3_1160:                             ;   Parent Loop BB3_1155 Depth=1
                                        ; =>  This Inner Loop Header: Depth=2
	s_add_u32 s24, s4, s20
	s_addc_u32 s25, s5, s21
	s_add_u32 s20, s20, 1
	global_load_ubyte v4, v6, s[24:25]
	s_addc_u32 s21, s21, 0
	s_waitcnt vmcnt(0)
	v_and_b32_e32 v5, 0xffff, v4
	v_lshlrev_b64 v[4:5], s18, v[5:6]
	s_add_u32 s18, s18, 8
	s_addc_u32 s19, s19, 0
	s_cmp_lg_u32 s22, s20
	v_or_b32_e32 v13, v4, v13
	v_or_b32_e32 v14, v5, v14
	s_cbranch_scc1 .LBB3_1160
.LBB3_1161:                             ;   in Loop: Header=BB3_1155 Depth=1
	s_mov_b32 s23, 0
	s_cbranch_execz .LBB3_1168
	s_branch .LBB3_1169
.LBB3_1162:                             ;   in Loop: Header=BB3_1155 Depth=1
	v_mov_b32_e32 v11, 0
	v_mov_b32_e32 v12, 0
	s_cmp_eq_u64 s[10:11], 0
	s_mov_b64 s[4:5], 0
	s_cbranch_scc1 .LBB3_1165
; %bb.1163:                             ;   in Loop: Header=BB3_1155 Depth=1
	v_mov_b32_e32 v11, 0
	v_mov_b32_e32 v12, 0
	s_lshl_b64 s[18:19], s[16:17], 3
	s_mov_b64 s[20:21], s[6:7]
.LBB3_1164:                             ;   Parent Loop BB3_1155 Depth=1
                                        ; =>  This Inner Loop Header: Depth=2
	global_load_ubyte v4, v6, s[20:21]
	s_waitcnt vmcnt(0)
	v_and_b32_e32 v5, 0xffff, v4
	v_lshlrev_b64 v[4:5], s4, v[5:6]
	s_add_u32 s4, s4, 8
	s_addc_u32 s5, s5, 0
	s_add_u32 s20, s20, 1
	s_addc_u32 s21, s21, 0
	s_cmp_lg_u32 s18, s4
	v_or_b32_e32 v11, v4, v11
	v_or_b32_e32 v12, v5, v12
	s_cbranch_scc1 .LBB3_1164
.LBB3_1165:                             ;   in Loop: Header=BB3_1155 Depth=1
	s_mov_b32 s22, 0
	s_mov_b64 s[4:5], s[6:7]
	s_cbranch_execnz .LBB3_1157
.LBB3_1166:                             ;   in Loop: Header=BB3_1155 Depth=1
	global_load_dwordx2 v[11:12], v6, s[6:7]
	s_add_i32 s22, s16, -8
	s_add_u32 s4, s6, 8
	s_addc_u32 s5, s7, 0
	s_cmp_gt_u32 s22, 7
	s_cbranch_scc0 .LBB3_1158
.LBB3_1167:                             ;   in Loop: Header=BB3_1155 Depth=1
                                        ; implicit-def: $vgpr13_vgpr14
                                        ; implicit-def: $sgpr23
.LBB3_1168:                             ;   in Loop: Header=BB3_1155 Depth=1
	global_load_dwordx2 v[13:14], v6, s[4:5]
	s_add_i32 s23, s22, -8
	s_add_u32 s4, s4, 8
	s_addc_u32 s5, s5, 0
.LBB3_1169:                             ;   in Loop: Header=BB3_1155 Depth=1
	s_cmp_gt_u32 s23, 7
	s_cbranch_scc1 .LBB3_1174
; %bb.1170:                             ;   in Loop: Header=BB3_1155 Depth=1
	v_mov_b32_e32 v15, 0
	v_mov_b32_e32 v16, 0
	s_cmp_eq_u32 s23, 0
	s_cbranch_scc1 .LBB3_1173
; %bb.1171:                             ;   in Loop: Header=BB3_1155 Depth=1
	s_mov_b64 s[18:19], 0
	s_mov_b64 s[20:21], 0
.LBB3_1172:                             ;   Parent Loop BB3_1155 Depth=1
                                        ; =>  This Inner Loop Header: Depth=2
	s_add_u32 s24, s4, s20
	s_addc_u32 s25, s5, s21
	s_add_u32 s20, s20, 1
	global_load_ubyte v4, v6, s[24:25]
	s_addc_u32 s21, s21, 0
	s_waitcnt vmcnt(0)
	v_and_b32_e32 v5, 0xffff, v4
	v_lshlrev_b64 v[4:5], s18, v[5:6]
	s_add_u32 s18, s18, 8
	s_addc_u32 s19, s19, 0
	s_cmp_lg_u32 s23, s20
	v_or_b32_e32 v15, v4, v15
	v_or_b32_e32 v16, v5, v16
	s_cbranch_scc1 .LBB3_1172
.LBB3_1173:                             ;   in Loop: Header=BB3_1155 Depth=1
	s_mov_b32 s22, 0
	s_cbranch_execz .LBB3_1175
	s_branch .LBB3_1176
.LBB3_1174:                             ;   in Loop: Header=BB3_1155 Depth=1
                                        ; implicit-def: $sgpr22
.LBB3_1175:                             ;   in Loop: Header=BB3_1155 Depth=1
	global_load_dwordx2 v[15:16], v6, s[4:5]
	s_add_i32 s22, s23, -8
	s_add_u32 s4, s4, 8
	s_addc_u32 s5, s5, 0
.LBB3_1176:                             ;   in Loop: Header=BB3_1155 Depth=1
	s_cmp_gt_u32 s22, 7
	s_cbranch_scc1 .LBB3_1181
; %bb.1177:                             ;   in Loop: Header=BB3_1155 Depth=1
	v_mov_b32_e32 v17, 0
	v_mov_b32_e32 v18, 0
	s_cmp_eq_u32 s22, 0
	s_cbranch_scc1 .LBB3_1180
; %bb.1178:                             ;   in Loop: Header=BB3_1155 Depth=1
	s_mov_b64 s[18:19], 0
	s_mov_b64 s[20:21], 0
.LBB3_1179:                             ;   Parent Loop BB3_1155 Depth=1
                                        ; =>  This Inner Loop Header: Depth=2
	s_add_u32 s24, s4, s20
	s_addc_u32 s25, s5, s21
	s_add_u32 s20, s20, 1
	global_load_ubyte v4, v6, s[24:25]
	s_addc_u32 s21, s21, 0
	s_waitcnt vmcnt(0)
	v_and_b32_e32 v5, 0xffff, v4
	v_lshlrev_b64 v[4:5], s18, v[5:6]
	s_add_u32 s18, s18, 8
	s_addc_u32 s19, s19, 0
	s_cmp_lg_u32 s22, s20
	v_or_b32_e32 v17, v4, v17
	v_or_b32_e32 v18, v5, v18
	s_cbranch_scc1 .LBB3_1179
.LBB3_1180:                             ;   in Loop: Header=BB3_1155 Depth=1
	s_mov_b32 s23, 0
	s_cbranch_execz .LBB3_1182
	s_branch .LBB3_1183
.LBB3_1181:                             ;   in Loop: Header=BB3_1155 Depth=1
                                        ; implicit-def: $vgpr17_vgpr18
                                        ; implicit-def: $sgpr23
.LBB3_1182:                             ;   in Loop: Header=BB3_1155 Depth=1
	global_load_dwordx2 v[17:18], v6, s[4:5]
	s_add_i32 s23, s22, -8
	s_add_u32 s4, s4, 8
	s_addc_u32 s5, s5, 0
.LBB3_1183:                             ;   in Loop: Header=BB3_1155 Depth=1
	s_cmp_gt_u32 s23, 7
	s_cbranch_scc1 .LBB3_1188
; %bb.1184:                             ;   in Loop: Header=BB3_1155 Depth=1
	v_mov_b32_e32 v19, 0
	v_mov_b32_e32 v20, 0
	s_cmp_eq_u32 s23, 0
	s_cbranch_scc1 .LBB3_1187
; %bb.1185:                             ;   in Loop: Header=BB3_1155 Depth=1
	s_mov_b64 s[18:19], 0
	s_mov_b64 s[20:21], 0
.LBB3_1186:                             ;   Parent Loop BB3_1155 Depth=1
                                        ; =>  This Inner Loop Header: Depth=2
	s_add_u32 s24, s4, s20
	s_addc_u32 s25, s5, s21
	s_add_u32 s20, s20, 1
	global_load_ubyte v4, v6, s[24:25]
	s_addc_u32 s21, s21, 0
	s_waitcnt vmcnt(0)
	v_and_b32_e32 v5, 0xffff, v4
	v_lshlrev_b64 v[4:5], s18, v[5:6]
	s_add_u32 s18, s18, 8
	s_addc_u32 s19, s19, 0
	s_cmp_lg_u32 s23, s20
	v_or_b32_e32 v19, v4, v19
	v_or_b32_e32 v20, v5, v20
	s_cbranch_scc1 .LBB3_1186
.LBB3_1187:                             ;   in Loop: Header=BB3_1155 Depth=1
	s_mov_b32 s22, 0
	s_cbranch_execz .LBB3_1189
	s_branch .LBB3_1190
.LBB3_1188:                             ;   in Loop: Header=BB3_1155 Depth=1
                                        ; implicit-def: $sgpr22
.LBB3_1189:                             ;   in Loop: Header=BB3_1155 Depth=1
	global_load_dwordx2 v[19:20], v6, s[4:5]
	s_add_i32 s22, s23, -8
	s_add_u32 s4, s4, 8
	s_addc_u32 s5, s5, 0
.LBB3_1190:                             ;   in Loop: Header=BB3_1155 Depth=1
	s_cmp_gt_u32 s22, 7
	s_cbranch_scc1 .LBB3_1195
; %bb.1191:                             ;   in Loop: Header=BB3_1155 Depth=1
	v_mov_b32_e32 v21, 0
	v_mov_b32_e32 v22, 0
	s_cmp_eq_u32 s22, 0
	s_cbranch_scc1 .LBB3_1194
; %bb.1192:                             ;   in Loop: Header=BB3_1155 Depth=1
	s_mov_b64 s[18:19], 0
	s_mov_b64 s[20:21], 0
.LBB3_1193:                             ;   Parent Loop BB3_1155 Depth=1
                                        ; =>  This Inner Loop Header: Depth=2
	s_add_u32 s24, s4, s20
	s_addc_u32 s25, s5, s21
	s_add_u32 s20, s20, 1
	global_load_ubyte v4, v6, s[24:25]
	s_addc_u32 s21, s21, 0
	s_waitcnt vmcnt(0)
	v_and_b32_e32 v5, 0xffff, v4
	v_lshlrev_b64 v[4:5], s18, v[5:6]
	s_add_u32 s18, s18, 8
	s_addc_u32 s19, s19, 0
	s_cmp_lg_u32 s22, s20
	v_or_b32_e32 v21, v4, v21
	v_or_b32_e32 v22, v5, v22
	s_cbranch_scc1 .LBB3_1193
.LBB3_1194:                             ;   in Loop: Header=BB3_1155 Depth=1
	s_mov_b32 s23, 0
	s_cbranch_execz .LBB3_1196
	s_branch .LBB3_1197
.LBB3_1195:                             ;   in Loop: Header=BB3_1155 Depth=1
                                        ; implicit-def: $vgpr21_vgpr22
                                        ; implicit-def: $sgpr23
.LBB3_1196:                             ;   in Loop: Header=BB3_1155 Depth=1
	global_load_dwordx2 v[21:22], v6, s[4:5]
	s_add_i32 s23, s22, -8
	s_add_u32 s4, s4, 8
	s_addc_u32 s5, s5, 0
.LBB3_1197:                             ;   in Loop: Header=BB3_1155 Depth=1
	s_cmp_gt_u32 s23, 7
	s_cbranch_scc1 .LBB3_1202
; %bb.1198:                             ;   in Loop: Header=BB3_1155 Depth=1
	v_mov_b32_e32 v23, 0
	v_mov_b32_e32 v24, 0
	s_cmp_eq_u32 s23, 0
	s_cbranch_scc1 .LBB3_1201
; %bb.1199:                             ;   in Loop: Header=BB3_1155 Depth=1
	s_mov_b64 s[18:19], 0
	s_mov_b64 s[20:21], s[4:5]
.LBB3_1200:                             ;   Parent Loop BB3_1155 Depth=1
                                        ; =>  This Inner Loop Header: Depth=2
	global_load_ubyte v4, v6, s[20:21]
	s_add_i32 s23, s23, -1
	s_waitcnt vmcnt(0)
	v_and_b32_e32 v5, 0xffff, v4
	v_lshlrev_b64 v[4:5], s18, v[5:6]
	s_add_u32 s18, s18, 8
	s_addc_u32 s19, s19, 0
	s_add_u32 s20, s20, 1
	s_addc_u32 s21, s21, 0
	s_cmp_lg_u32 s23, 0
	v_or_b32_e32 v23, v4, v23
	v_or_b32_e32 v24, v5, v24
	s_cbranch_scc1 .LBB3_1200
.LBB3_1201:                             ;   in Loop: Header=BB3_1155 Depth=1
	s_cbranch_execz .LBB3_1203
	s_branch .LBB3_1204
.LBB3_1202:                             ;   in Loop: Header=BB3_1155 Depth=1
.LBB3_1203:                             ;   in Loop: Header=BB3_1155 Depth=1
	global_load_dwordx2 v[23:24], v6, s[4:5]
.LBB3_1204:                             ;   in Loop: Header=BB3_1155 Depth=1
	v_readfirstlane_b32 s4, v50
	s_waitcnt vmcnt(0)
	v_mov_b32_e32 v4, 0
	v_mov_b32_e32 v5, 0
	v_cmp_eq_u32_e64 s4, s4, v50
	s_and_saveexec_b32 s5, s4
	s_cbranch_execz .LBB3_1210
; %bb.1205:                             ;   in Loop: Header=BB3_1155 Depth=1
	global_load_dwordx2 v[27:28], v6, s[26:27] offset:24 glc dlc
	s_waitcnt vmcnt(0)
	buffer_gl1_inv
	buffer_gl0_inv
	s_clause 0x1
	global_load_dwordx2 v[4:5], v6, s[26:27] offset:40
	global_load_dwordx2 v[9:10], v6, s[26:27]
	s_mov_b32 s18, exec_lo
	s_waitcnt vmcnt(1)
	v_and_b32_e32 v5, v5, v28
	v_and_b32_e32 v4, v4, v27
	v_mul_lo_u32 v5, v5, 24
	v_mul_hi_u32 v25, v4, 24
	v_mul_lo_u32 v4, v4, 24
	v_add_nc_u32_e32 v5, v25, v5
	s_waitcnt vmcnt(0)
	v_add_co_u32 v4, vcc_lo, v9, v4
	v_add_co_ci_u32_e32 v5, vcc_lo, v10, v5, vcc_lo
	global_load_dwordx2 v[25:26], v[4:5], off glc dlc
	s_waitcnt vmcnt(0)
	global_atomic_cmpswap_x2 v[4:5], v6, v[25:28], s[26:27] offset:24 glc
	s_waitcnt vmcnt(0)
	buffer_gl1_inv
	buffer_gl0_inv
	v_cmpx_ne_u64_e64 v[4:5], v[27:28]
	s_cbranch_execz .LBB3_1209
; %bb.1206:                             ;   in Loop: Header=BB3_1155 Depth=1
	s_mov_b32 s19, 0
	.p2align	6
.LBB3_1207:                             ;   Parent Loop BB3_1155 Depth=1
                                        ; =>  This Inner Loop Header: Depth=2
	s_sleep 1
	s_clause 0x1
	global_load_dwordx2 v[9:10], v6, s[26:27] offset:40
	global_load_dwordx2 v[25:26], v6, s[26:27]
	v_mov_b32_e32 v28, v5
	v_mov_b32_e32 v27, v4
	s_waitcnt vmcnt(1)
	v_and_b32_e32 v4, v9, v27
	v_and_b32_e32 v9, v10, v28
	s_waitcnt vmcnt(0)
	v_mad_u64_u32 v[4:5], null, v4, 24, v[25:26]
	v_mad_u64_u32 v[9:10], null, v9, 24, v[5:6]
	v_mov_b32_e32 v5, v9
	global_load_dwordx2 v[25:26], v[4:5], off glc dlc
	s_waitcnt vmcnt(0)
	global_atomic_cmpswap_x2 v[4:5], v6, v[25:28], s[26:27] offset:24 glc
	s_waitcnt vmcnt(0)
	buffer_gl1_inv
	buffer_gl0_inv
	v_cmp_eq_u64_e32 vcc_lo, v[4:5], v[27:28]
	s_or_b32 s19, vcc_lo, s19
	s_andn2_b32 exec_lo, exec_lo, s19
	s_cbranch_execnz .LBB3_1207
; %bb.1208:                             ;   in Loop: Header=BB3_1155 Depth=1
	s_or_b32 exec_lo, exec_lo, s19
.LBB3_1209:                             ;   in Loop: Header=BB3_1155 Depth=1
	s_or_b32 exec_lo, exec_lo, s18
.LBB3_1210:                             ;   in Loop: Header=BB3_1155 Depth=1
	s_or_b32 exec_lo, exec_lo, s5
	s_clause 0x1
	global_load_dwordx2 v[9:10], v6, s[26:27] offset:40
	global_load_dwordx4 v[25:28], v6, s[26:27]
	v_readfirstlane_b32 s18, v4
	v_readfirstlane_b32 s19, v5
	s_mov_b32 s5, exec_lo
	s_waitcnt vmcnt(1)
	v_readfirstlane_b32 s20, v9
	v_readfirstlane_b32 s21, v10
	s_and_b64 s[20:21], s[18:19], s[20:21]
	s_mul_i32 s22, s21, 24
	s_mul_hi_u32 s23, s20, 24
	s_mul_i32 s24, s20, 24
	s_add_i32 s23, s23, s22
	s_waitcnt vmcnt(0)
	v_add_co_u32 v29, vcc_lo, v25, s24
	v_add_co_ci_u32_e32 v30, vcc_lo, s23, v26, vcc_lo
	s_and_saveexec_b32 s22, s4
	s_cbranch_execz .LBB3_1212
; %bb.1211:                             ;   in Loop: Header=BB3_1155 Depth=1
	v_mov_b32_e32 v5, s5
	global_store_dwordx4 v[29:30], v[5:8], off offset:8
.LBB3_1212:                             ;   in Loop: Header=BB3_1155 Depth=1
	s_or_b32 exec_lo, exec_lo, s22
	s_lshl_b64 s[20:21], s[20:21], 12
	v_cmp_gt_u64_e64 vcc_lo, s[10:11], 56
	v_or_b32_e32 v5, v2, v31
	v_add_co_u32 v27, s5, v27, s20
	v_add_co_ci_u32_e64 v28, s5, s21, v28, s5
	s_lshl_b32 s5, s16, 2
	v_or_b32_e32 v4, 0, v3
	v_cndmask_b32_e32 v2, v5, v2, vcc_lo
	s_add_i32 s5, s5, 28
	v_readfirstlane_b32 s20, v27
	s_and_b32 s5, s5, 0x1e0
	v_cndmask_b32_e32 v10, v4, v3, vcc_lo
	v_readfirstlane_b32 s21, v28
	v_and_or_b32 v9, 0xffffff1f, v2, s5
	global_store_dwordx4 v39, v[9:12], s[20:21]
	global_store_dwordx4 v39, v[13:16], s[20:21] offset:16
	global_store_dwordx4 v39, v[17:20], s[20:21] offset:32
	;; [unrolled: 1-line block ×3, first 2 shown]
	s_and_saveexec_b32 s5, s4
	s_cbranch_execz .LBB3_1220
; %bb.1213:                             ;   in Loop: Header=BB3_1155 Depth=1
	s_clause 0x1
	global_load_dwordx2 v[13:14], v6, s[26:27] offset:32 glc dlc
	global_load_dwordx2 v[2:3], v6, s[26:27] offset:40
	v_mov_b32_e32 v11, s18
	v_mov_b32_e32 v12, s19
	s_waitcnt vmcnt(0)
	v_readfirstlane_b32 s20, v2
	v_readfirstlane_b32 s21, v3
	s_and_b64 s[20:21], s[20:21], s[18:19]
	s_mul_i32 s21, s21, 24
	s_mul_hi_u32 s22, s20, 24
	s_mul_i32 s20, s20, 24
	s_add_i32 s22, s22, s21
	v_add_co_u32 v9, vcc_lo, v25, s20
	v_add_co_ci_u32_e32 v10, vcc_lo, s22, v26, vcc_lo
	s_mov_b32 s20, exec_lo
	global_store_dwordx2 v[9:10], v[13:14], off
	s_waitcnt_vscnt null, 0x0
	global_atomic_cmpswap_x2 v[4:5], v6, v[11:14], s[26:27] offset:32 glc
	s_waitcnt vmcnt(0)
	v_cmpx_ne_u64_e64 v[4:5], v[13:14]
	s_cbranch_execz .LBB3_1216
; %bb.1214:                             ;   in Loop: Header=BB3_1155 Depth=1
	s_mov_b32 s21, 0
.LBB3_1215:                             ;   Parent Loop BB3_1155 Depth=1
                                        ; =>  This Inner Loop Header: Depth=2
	v_mov_b32_e32 v2, s18
	v_mov_b32_e32 v3, s19
	s_sleep 1
	global_store_dwordx2 v[9:10], v[4:5], off
	s_waitcnt_vscnt null, 0x0
	global_atomic_cmpswap_x2 v[2:3], v6, v[2:5], s[26:27] offset:32 glc
	s_waitcnt vmcnt(0)
	v_cmp_eq_u64_e32 vcc_lo, v[2:3], v[4:5]
	v_mov_b32_e32 v5, v3
	v_mov_b32_e32 v4, v2
	s_or_b32 s21, vcc_lo, s21
	s_andn2_b32 exec_lo, exec_lo, s21
	s_cbranch_execnz .LBB3_1215
.LBB3_1216:                             ;   in Loop: Header=BB3_1155 Depth=1
	s_or_b32 exec_lo, exec_lo, s20
	global_load_dwordx2 v[2:3], v6, s[26:27] offset:16
	s_mov_b32 s21, exec_lo
	s_mov_b32 s20, exec_lo
	v_mbcnt_lo_u32_b32 v4, s21, 0
	v_cmpx_eq_u32_e32 0, v4
	s_cbranch_execz .LBB3_1218
; %bb.1217:                             ;   in Loop: Header=BB3_1155 Depth=1
	s_bcnt1_i32_b32 s21, s21
	v_mov_b32_e32 v5, s21
	s_waitcnt vmcnt(0)
	global_atomic_add_x2 v[2:3], v[5:6], off offset:8
.LBB3_1218:                             ;   in Loop: Header=BB3_1155 Depth=1
	s_or_b32 exec_lo, exec_lo, s20
	s_waitcnt vmcnt(0)
	global_load_dwordx2 v[9:10], v[2:3], off offset:16
	s_waitcnt vmcnt(0)
	v_cmp_eq_u64_e32 vcc_lo, 0, v[9:10]
	s_cbranch_vccnz .LBB3_1220
; %bb.1219:                             ;   in Loop: Header=BB3_1155 Depth=1
	global_load_dword v5, v[2:3], off offset:24
	s_waitcnt vmcnt(0)
	v_and_b32_e32 v2, 0x7fffff, v5
	s_waitcnt_vscnt null, 0x0
	global_store_dwordx2 v[9:10], v[5:6], off
	v_readfirstlane_b32 m0, v2
	s_sendmsg sendmsg(MSG_INTERRUPT)
.LBB3_1220:                             ;   in Loop: Header=BB3_1155 Depth=1
	s_or_b32 exec_lo, exec_lo, s5
	v_add_co_u32 v2, vcc_lo, v27, v39
	v_add_co_ci_u32_e32 v3, vcc_lo, 0, v28, vcc_lo
	s_branch .LBB3_1224
	.p2align	6
.LBB3_1221:                             ;   in Loop: Header=BB3_1224 Depth=2
	s_or_b32 exec_lo, exec_lo, s5
	v_readfirstlane_b32 s5, v4
	s_cmp_eq_u32 s5, 0
	s_cbranch_scc1 .LBB3_1223
; %bb.1222:                             ;   in Loop: Header=BB3_1224 Depth=2
	s_sleep 1
	s_cbranch_execnz .LBB3_1224
	s_branch .LBB3_1226
	.p2align	6
.LBB3_1223:                             ;   in Loop: Header=BB3_1155 Depth=1
	s_branch .LBB3_1226
.LBB3_1224:                             ;   Parent Loop BB3_1155 Depth=1
                                        ; =>  This Inner Loop Header: Depth=2
	v_mov_b32_e32 v4, 1
	s_and_saveexec_b32 s5, s4
	s_cbranch_execz .LBB3_1221
; %bb.1225:                             ;   in Loop: Header=BB3_1224 Depth=2
	global_load_dword v4, v[29:30], off offset:20 glc dlc
	s_waitcnt vmcnt(0)
	buffer_gl1_inv
	buffer_gl0_inv
	v_and_b32_e32 v4, 1, v4
	s_branch .LBB3_1221
.LBB3_1226:                             ;   in Loop: Header=BB3_1155 Depth=1
	global_load_dwordx4 v[2:5], v[2:3], off
	s_and_saveexec_b32 s5, s4
	s_cbranch_execz .LBB3_1154
; %bb.1227:                             ;   in Loop: Header=BB3_1155 Depth=1
	s_clause 0x2
	global_load_dwordx2 v[4:5], v6, s[26:27] offset:40
	global_load_dwordx2 v[13:14], v6, s[26:27] offset:24 glc dlc
	global_load_dwordx2 v[11:12], v6, s[26:27]
	s_waitcnt vmcnt(2)
	v_add_co_u32 v15, vcc_lo, v4, 1
	v_add_co_ci_u32_e32 v16, vcc_lo, 0, v5, vcc_lo
	v_add_co_u32 v9, vcc_lo, v15, s18
	v_add_co_ci_u32_e32 v10, vcc_lo, s19, v16, vcc_lo
	v_cmp_eq_u64_e32 vcc_lo, 0, v[9:10]
	v_cndmask_b32_e32 v10, v10, v16, vcc_lo
	v_cndmask_b32_e32 v9, v9, v15, vcc_lo
	v_and_b32_e32 v5, v10, v5
	v_and_b32_e32 v4, v9, v4
	v_mul_lo_u32 v5, v5, 24
	v_mul_hi_u32 v15, v4, 24
	v_mul_lo_u32 v4, v4, 24
	v_add_nc_u32_e32 v5, v15, v5
	s_waitcnt vmcnt(0)
	v_add_co_u32 v4, vcc_lo, v11, v4
	v_mov_b32_e32 v11, v13
	v_add_co_ci_u32_e32 v5, vcc_lo, v12, v5, vcc_lo
	v_mov_b32_e32 v12, v14
	global_store_dwordx2 v[4:5], v[13:14], off
	s_waitcnt_vscnt null, 0x0
	global_atomic_cmpswap_x2 v[11:12], v6, v[9:12], s[26:27] offset:24 glc
	s_waitcnt vmcnt(0)
	v_cmp_ne_u64_e32 vcc_lo, v[11:12], v[13:14]
	s_and_b32 exec_lo, exec_lo, vcc_lo
	s_cbranch_execz .LBB3_1154
; %bb.1228:                             ;   in Loop: Header=BB3_1155 Depth=1
	s_mov_b32 s4, 0
.LBB3_1229:                             ;   Parent Loop BB3_1155 Depth=1
                                        ; =>  This Inner Loop Header: Depth=2
	s_sleep 1
	global_store_dwordx2 v[4:5], v[11:12], off
	s_waitcnt_vscnt null, 0x0
	global_atomic_cmpswap_x2 v[13:14], v6, v[9:12], s[26:27] offset:24 glc
	s_waitcnt vmcnt(0)
	v_cmp_eq_u64_e32 vcc_lo, v[13:14], v[11:12]
	v_mov_b32_e32 v11, v13
	v_mov_b32_e32 v12, v14
	s_or_b32 s4, vcc_lo, s4
	s_andn2_b32 exec_lo, exec_lo, s4
	s_cbranch_execnz .LBB3_1229
	s_branch .LBB3_1154
.LBB3_1230:
	s_branch .LBB3_1259
.LBB3_1231:
                                        ; implicit-def: $vgpr2_vgpr3
	s_cbranch_execz .LBB3_1259
; %bb.1232:
	v_readfirstlane_b32 s4, v50
	v_mov_b32_e32 v8, 0
	v_mov_b32_e32 v9, 0
	v_cmp_eq_u32_e64 s4, s4, v50
	s_and_saveexec_b32 s5, s4
	s_cbranch_execz .LBB3_1238
; %bb.1233:
	s_waitcnt vmcnt(0)
	v_mov_b32_e32 v2, 0
	s_mov_b32 s6, exec_lo
	global_load_dwordx2 v[5:6], v2, s[26:27] offset:24 glc dlc
	s_waitcnt vmcnt(0)
	buffer_gl1_inv
	buffer_gl0_inv
	s_clause 0x1
	global_load_dwordx2 v[3:4], v2, s[26:27] offset:40
	global_load_dwordx2 v[7:8], v2, s[26:27]
	s_waitcnt vmcnt(1)
	v_and_b32_e32 v4, v4, v6
	v_and_b32_e32 v3, v3, v5
	v_mul_lo_u32 v4, v4, 24
	v_mul_hi_u32 v9, v3, 24
	v_mul_lo_u32 v3, v3, 24
	v_add_nc_u32_e32 v4, v9, v4
	s_waitcnt vmcnt(0)
	v_add_co_u32 v3, vcc_lo, v7, v3
	v_add_co_ci_u32_e32 v4, vcc_lo, v8, v4, vcc_lo
	global_load_dwordx2 v[3:4], v[3:4], off glc dlc
	s_waitcnt vmcnt(0)
	global_atomic_cmpswap_x2 v[8:9], v2, v[3:6], s[26:27] offset:24 glc
	s_waitcnt vmcnt(0)
	buffer_gl1_inv
	buffer_gl0_inv
	v_cmpx_ne_u64_e64 v[8:9], v[5:6]
	s_cbranch_execz .LBB3_1237
; %bb.1234:
	s_mov_b32 s7, 0
	.p2align	6
.LBB3_1235:                             ; =>This Inner Loop Header: Depth=1
	s_sleep 1
	s_clause 0x1
	global_load_dwordx2 v[3:4], v2, s[26:27] offset:40
	global_load_dwordx2 v[10:11], v2, s[26:27]
	v_mov_b32_e32 v5, v8
	v_mov_b32_e32 v6, v9
	s_waitcnt vmcnt(1)
	v_and_b32_e32 v3, v3, v5
	v_and_b32_e32 v4, v4, v6
	s_waitcnt vmcnt(0)
	v_mad_u64_u32 v[7:8], null, v3, 24, v[10:11]
	v_mov_b32_e32 v3, v8
	v_mad_u64_u32 v[3:4], null, v4, 24, v[3:4]
	v_mov_b32_e32 v8, v3
	global_load_dwordx2 v[3:4], v[7:8], off glc dlc
	s_waitcnt vmcnt(0)
	global_atomic_cmpswap_x2 v[8:9], v2, v[3:6], s[26:27] offset:24 glc
	s_waitcnt vmcnt(0)
	buffer_gl1_inv
	buffer_gl0_inv
	v_cmp_eq_u64_e32 vcc_lo, v[8:9], v[5:6]
	s_or_b32 s7, vcc_lo, s7
	s_andn2_b32 exec_lo, exec_lo, s7
	s_cbranch_execnz .LBB3_1235
; %bb.1236:
	s_or_b32 exec_lo, exec_lo, s7
.LBB3_1237:
	s_or_b32 exec_lo, exec_lo, s6
.LBB3_1238:
	s_or_b32 exec_lo, exec_lo, s5
	s_waitcnt vmcnt(0)
	v_mov_b32_e32 v2, 0
	v_readfirstlane_b32 s6, v8
	v_readfirstlane_b32 s7, v9
	s_mov_b32 s5, exec_lo
	s_clause 0x1
	global_load_dwordx2 v[10:11], v2, s[26:27] offset:40
	global_load_dwordx4 v[4:7], v2, s[26:27]
	s_waitcnt vmcnt(1)
	v_readfirstlane_b32 s10, v10
	v_readfirstlane_b32 s11, v11
	s_and_b64 s[10:11], s[6:7], s[10:11]
	s_mul_i32 s16, s11, 24
	s_mul_hi_u32 s17, s10, 24
	s_mul_i32 s18, s10, 24
	s_add_i32 s17, s17, s16
	s_waitcnt vmcnt(0)
	v_add_co_u32 v8, vcc_lo, v4, s18
	v_add_co_ci_u32_e32 v9, vcc_lo, s17, v5, vcc_lo
	s_and_saveexec_b32 s16, s4
	s_cbranch_execz .LBB3_1240
; %bb.1239:
	v_mov_b32_e32 v10, s5
	v_mov_b32_e32 v11, v2
	;; [unrolled: 1-line block ×4, first 2 shown]
	global_store_dwordx4 v[8:9], v[10:13], off offset:8
.LBB3_1240:
	s_or_b32 exec_lo, exec_lo, s16
	s_lshl_b64 s[10:11], s[10:11], 12
	s_mov_b32 s16, 0
	v_add_co_u32 v6, vcc_lo, v6, s10
	v_add_co_ci_u32_e32 v7, vcc_lo, s11, v7, vcc_lo
	s_mov_b32 s17, s16
	v_readfirstlane_b32 s10, v6
	v_add_co_u32 v6, vcc_lo, v6, v39
	s_mov_b32 s18, s16
	s_mov_b32 s19, s16
	v_and_or_b32 v0, 0xffffff1f, v0, 32
	v_mov_b32_e32 v3, v2
	v_readfirstlane_b32 s11, v7
	v_mov_b32_e32 v10, s16
	v_add_co_ci_u32_e32 v7, vcc_lo, 0, v7, vcc_lo
	v_mov_b32_e32 v11, s17
	v_mov_b32_e32 v12, s18
	v_mov_b32_e32 v13, s19
	global_store_dwordx4 v39, v[0:3], s[10:11]
	global_store_dwordx4 v39, v[10:13], s[10:11] offset:16
	global_store_dwordx4 v39, v[10:13], s[10:11] offset:32
	;; [unrolled: 1-line block ×3, first 2 shown]
	s_and_saveexec_b32 s5, s4
	s_cbranch_execz .LBB3_1248
; %bb.1241:
	v_mov_b32_e32 v10, 0
	v_mov_b32_e32 v11, s6
	;; [unrolled: 1-line block ×3, first 2 shown]
	s_clause 0x1
	global_load_dwordx2 v[13:14], v10, s[26:27] offset:32 glc dlc
	global_load_dwordx2 v[0:1], v10, s[26:27] offset:40
	s_waitcnt vmcnt(0)
	v_readfirstlane_b32 s10, v0
	v_readfirstlane_b32 s11, v1
	s_and_b64 s[10:11], s[10:11], s[6:7]
	s_mul_i32 s11, s11, 24
	s_mul_hi_u32 s16, s10, 24
	s_mul_i32 s10, s10, 24
	s_add_i32 s16, s16, s11
	v_add_co_u32 v4, vcc_lo, v4, s10
	v_add_co_ci_u32_e32 v5, vcc_lo, s16, v5, vcc_lo
	s_mov_b32 s10, exec_lo
	global_store_dwordx2 v[4:5], v[13:14], off
	s_waitcnt_vscnt null, 0x0
	global_atomic_cmpswap_x2 v[2:3], v10, v[11:14], s[26:27] offset:32 glc
	s_waitcnt vmcnt(0)
	v_cmpx_ne_u64_e64 v[2:3], v[13:14]
	s_cbranch_execz .LBB3_1244
; %bb.1242:
	s_mov_b32 s11, 0
.LBB3_1243:                             ; =>This Inner Loop Header: Depth=1
	v_mov_b32_e32 v0, s6
	v_mov_b32_e32 v1, s7
	s_sleep 1
	global_store_dwordx2 v[4:5], v[2:3], off
	s_waitcnt_vscnt null, 0x0
	global_atomic_cmpswap_x2 v[0:1], v10, v[0:3], s[26:27] offset:32 glc
	s_waitcnt vmcnt(0)
	v_cmp_eq_u64_e32 vcc_lo, v[0:1], v[2:3]
	v_mov_b32_e32 v3, v1
	v_mov_b32_e32 v2, v0
	s_or_b32 s11, vcc_lo, s11
	s_andn2_b32 exec_lo, exec_lo, s11
	s_cbranch_execnz .LBB3_1243
.LBB3_1244:
	s_or_b32 exec_lo, exec_lo, s10
	v_mov_b32_e32 v3, 0
	s_mov_b32 s11, exec_lo
	s_mov_b32 s10, exec_lo
	v_mbcnt_lo_u32_b32 v2, s11, 0
	global_load_dwordx2 v[0:1], v3, s[26:27] offset:16
	v_cmpx_eq_u32_e32 0, v2
	s_cbranch_execz .LBB3_1246
; %bb.1245:
	s_bcnt1_i32_b32 s11, s11
	v_mov_b32_e32 v2, s11
	s_waitcnt vmcnt(0)
	global_atomic_add_x2 v[0:1], v[2:3], off offset:8
.LBB3_1246:
	s_or_b32 exec_lo, exec_lo, s10
	s_waitcnt vmcnt(0)
	global_load_dwordx2 v[2:3], v[0:1], off offset:16
	s_waitcnt vmcnt(0)
	v_cmp_eq_u64_e32 vcc_lo, 0, v[2:3]
	s_cbranch_vccnz .LBB3_1248
; %bb.1247:
	global_load_dword v0, v[0:1], off offset:24
	v_mov_b32_e32 v1, 0
	s_waitcnt vmcnt(0)
	v_and_b32_e32 v4, 0x7fffff, v0
	s_waitcnt_vscnt null, 0x0
	global_store_dwordx2 v[2:3], v[0:1], off
	v_readfirstlane_b32 m0, v4
	s_sendmsg sendmsg(MSG_INTERRUPT)
.LBB3_1248:
	s_or_b32 exec_lo, exec_lo, s5
	s_branch .LBB3_1252
	.p2align	6
.LBB3_1249:                             ;   in Loop: Header=BB3_1252 Depth=1
	s_or_b32 exec_lo, exec_lo, s5
	v_readfirstlane_b32 s5, v0
	s_cmp_eq_u32 s5, 0
	s_cbranch_scc1 .LBB3_1251
; %bb.1250:                             ;   in Loop: Header=BB3_1252 Depth=1
	s_sleep 1
	s_cbranch_execnz .LBB3_1252
	s_branch .LBB3_1254
	.p2align	6
.LBB3_1251:
	s_branch .LBB3_1254
.LBB3_1252:                             ; =>This Inner Loop Header: Depth=1
	v_mov_b32_e32 v0, 1
	s_and_saveexec_b32 s5, s4
	s_cbranch_execz .LBB3_1249
; %bb.1253:                             ;   in Loop: Header=BB3_1252 Depth=1
	global_load_dword v0, v[8:9], off offset:20 glc dlc
	s_waitcnt vmcnt(0)
	buffer_gl1_inv
	buffer_gl0_inv
	v_and_b32_e32 v0, 1, v0
	s_branch .LBB3_1249
.LBB3_1254:
	global_load_dwordx2 v[2:3], v[6:7], off
	s_and_saveexec_b32 s5, s4
	s_cbranch_execz .LBB3_1258
; %bb.1255:
	v_mov_b32_e32 v8, 0
	s_clause 0x2
	global_load_dwordx2 v[0:1], v8, s[26:27] offset:40
	global_load_dwordx2 v[9:10], v8, s[26:27] offset:24 glc dlc
	global_load_dwordx2 v[6:7], v8, s[26:27]
	s_waitcnt vmcnt(2)
	v_add_co_u32 v11, vcc_lo, v0, 1
	v_add_co_ci_u32_e32 v12, vcc_lo, 0, v1, vcc_lo
	v_add_co_u32 v4, vcc_lo, v11, s6
	v_add_co_ci_u32_e32 v5, vcc_lo, s7, v12, vcc_lo
	v_cmp_eq_u64_e32 vcc_lo, 0, v[4:5]
	v_cndmask_b32_e32 v5, v5, v12, vcc_lo
	v_cndmask_b32_e32 v4, v4, v11, vcc_lo
	v_and_b32_e32 v1, v5, v1
	v_and_b32_e32 v0, v4, v0
	v_mul_lo_u32 v1, v1, 24
	v_mul_hi_u32 v11, v0, 24
	v_mul_lo_u32 v0, v0, 24
	v_add_nc_u32_e32 v1, v11, v1
	s_waitcnt vmcnt(0)
	v_add_co_u32 v0, vcc_lo, v6, v0
	v_mov_b32_e32 v6, v9
	v_add_co_ci_u32_e32 v1, vcc_lo, v7, v1, vcc_lo
	v_mov_b32_e32 v7, v10
	global_store_dwordx2 v[0:1], v[9:10], off
	s_waitcnt_vscnt null, 0x0
	global_atomic_cmpswap_x2 v[6:7], v8, v[4:7], s[26:27] offset:24 glc
	s_waitcnt vmcnt(0)
	v_cmp_ne_u64_e32 vcc_lo, v[6:7], v[9:10]
	s_and_b32 exec_lo, exec_lo, vcc_lo
	s_cbranch_execz .LBB3_1258
; %bb.1256:
	s_mov_b32 s4, 0
.LBB3_1257:                             ; =>This Inner Loop Header: Depth=1
	s_sleep 1
	global_store_dwordx2 v[0:1], v[6:7], off
	s_waitcnt_vscnt null, 0x0
	global_atomic_cmpswap_x2 v[9:10], v8, v[4:7], s[26:27] offset:24 glc
	s_waitcnt vmcnt(0)
	v_cmp_eq_u64_e32 vcc_lo, v[9:10], v[6:7]
	v_mov_b32_e32 v6, v9
	v_mov_b32_e32 v7, v10
	s_or_b32 s4, vcc_lo, s4
	s_andn2_b32 exec_lo, exec_lo, s4
	s_cbranch_execnz .LBB3_1257
.LBB3_1258:
	s_or_b32 exec_lo, exec_lo, s5
.LBB3_1259:
	v_readfirstlane_b32 s4, v50
	s_waitcnt vmcnt(0)
	v_mov_b32_e32 v0, 0
	v_mov_b32_e32 v1, 0
	v_cmp_eq_u32_e64 s4, s4, v50
	s_and_saveexec_b32 s5, s4
	s_cbranch_execz .LBB3_1265
; %bb.1260:
	v_mov_b32_e32 v4, 0
	s_mov_b32 s6, exec_lo
	global_load_dwordx2 v[7:8], v4, s[26:27] offset:24 glc dlc
	s_waitcnt vmcnt(0)
	buffer_gl1_inv
	buffer_gl0_inv
	s_clause 0x1
	global_load_dwordx2 v[0:1], v4, s[26:27] offset:40
	global_load_dwordx2 v[5:6], v4, s[26:27]
	s_waitcnt vmcnt(1)
	v_and_b32_e32 v1, v1, v8
	v_and_b32_e32 v0, v0, v7
	v_mul_lo_u32 v1, v1, 24
	v_mul_hi_u32 v9, v0, 24
	v_mul_lo_u32 v0, v0, 24
	v_add_nc_u32_e32 v1, v9, v1
	s_waitcnt vmcnt(0)
	v_add_co_u32 v0, vcc_lo, v5, v0
	v_add_co_ci_u32_e32 v1, vcc_lo, v6, v1, vcc_lo
	global_load_dwordx2 v[5:6], v[0:1], off glc dlc
	s_waitcnt vmcnt(0)
	global_atomic_cmpswap_x2 v[0:1], v4, v[5:8], s[26:27] offset:24 glc
	s_waitcnt vmcnt(0)
	buffer_gl1_inv
	buffer_gl0_inv
	v_cmpx_ne_u64_e64 v[0:1], v[7:8]
	s_cbranch_execz .LBB3_1264
; %bb.1261:
	s_mov_b32 s7, 0
	.p2align	6
.LBB3_1262:                             ; =>This Inner Loop Header: Depth=1
	s_sleep 1
	s_clause 0x1
	global_load_dwordx2 v[5:6], v4, s[26:27] offset:40
	global_load_dwordx2 v[9:10], v4, s[26:27]
	v_mov_b32_e32 v8, v1
	v_mov_b32_e32 v7, v0
	s_waitcnt vmcnt(1)
	v_and_b32_e32 v0, v5, v7
	v_and_b32_e32 v5, v6, v8
	s_waitcnt vmcnt(0)
	v_mad_u64_u32 v[0:1], null, v0, 24, v[9:10]
	v_mad_u64_u32 v[5:6], null, v5, 24, v[1:2]
	v_mov_b32_e32 v1, v5
	global_load_dwordx2 v[5:6], v[0:1], off glc dlc
	s_waitcnt vmcnt(0)
	global_atomic_cmpswap_x2 v[0:1], v4, v[5:8], s[26:27] offset:24 glc
	s_waitcnt vmcnt(0)
	buffer_gl1_inv
	buffer_gl0_inv
	v_cmp_eq_u64_e32 vcc_lo, v[0:1], v[7:8]
	s_or_b32 s7, vcc_lo, s7
	s_andn2_b32 exec_lo, exec_lo, s7
	s_cbranch_execnz .LBB3_1262
; %bb.1263:
	s_or_b32 exec_lo, exec_lo, s7
.LBB3_1264:
	s_or_b32 exec_lo, exec_lo, s6
.LBB3_1265:
	s_or_b32 exec_lo, exec_lo, s5
	v_mov_b32_e32 v5, 0
	v_readfirstlane_b32 s6, v0
	v_readfirstlane_b32 s7, v1
	s_mov_b32 s5, exec_lo
	s_clause 0x1
	global_load_dwordx2 v[10:11], v5, s[26:27] offset:40
	global_load_dwordx4 v[6:9], v5, s[26:27]
	s_waitcnt vmcnt(1)
	v_readfirstlane_b32 s10, v10
	v_readfirstlane_b32 s11, v11
	s_and_b64 s[10:11], s[6:7], s[10:11]
	s_mul_i32 s16, s11, 24
	s_mul_hi_u32 s17, s10, 24
	s_mul_i32 s18, s10, 24
	s_add_i32 s17, s17, s16
	s_waitcnt vmcnt(0)
	v_add_co_u32 v10, vcc_lo, v6, s18
	v_add_co_ci_u32_e32 v11, vcc_lo, s17, v7, vcc_lo
	s_and_saveexec_b32 s16, s4
	s_cbranch_execz .LBB3_1267
; %bb.1266:
	v_mov_b32_e32 v4, s5
	v_mov_b32_e32 v13, v5
	;; [unrolled: 1-line block ×5, first 2 shown]
	global_store_dwordx4 v[10:11], v[12:15], off offset:8
.LBB3_1267:
	s_or_b32 exec_lo, exec_lo, s16
	s_lshl_b64 s[10:11], s[10:11], 12
	s_mov_b32 s16, 0
	v_add_co_u32 v0, vcc_lo, v8, s10
	v_add_co_ci_u32_e32 v1, vcc_lo, s11, v9, vcc_lo
	s_mov_b32 s17, s16
	s_mov_b32 s18, s16
	;; [unrolled: 1-line block ×3, first 2 shown]
	v_and_or_b32 v2, 0xffffff1d, v2, 34
	v_mov_b32_e32 v4, 10
	v_readfirstlane_b32 s10, v0
	v_readfirstlane_b32 s11, v1
	v_mov_b32_e32 v12, s16
	v_mov_b32_e32 v13, s17
	;; [unrolled: 1-line block ×4, first 2 shown]
	global_store_dwordx4 v39, v[2:5], s[10:11]
	global_store_dwordx4 v39, v[12:15], s[10:11] offset:16
	global_store_dwordx4 v39, v[12:15], s[10:11] offset:32
	;; [unrolled: 1-line block ×3, first 2 shown]
	s_and_saveexec_b32 s5, s4
	s_cbranch_execz .LBB3_1275
; %bb.1268:
	v_mov_b32_e32 v8, 0
	v_mov_b32_e32 v12, s6
	;; [unrolled: 1-line block ×3, first 2 shown]
	s_clause 0x1
	global_load_dwordx2 v[14:15], v8, s[26:27] offset:32 glc dlc
	global_load_dwordx2 v[0:1], v8, s[26:27] offset:40
	s_waitcnt vmcnt(0)
	v_readfirstlane_b32 s10, v0
	v_readfirstlane_b32 s11, v1
	s_and_b64 s[10:11], s[10:11], s[6:7]
	s_mul_i32 s11, s11, 24
	s_mul_hi_u32 s16, s10, 24
	s_mul_i32 s10, s10, 24
	s_add_i32 s16, s16, s11
	v_add_co_u32 v4, vcc_lo, v6, s10
	v_add_co_ci_u32_e32 v5, vcc_lo, s16, v7, vcc_lo
	s_mov_b32 s10, exec_lo
	global_store_dwordx2 v[4:5], v[14:15], off
	s_waitcnt_vscnt null, 0x0
	global_atomic_cmpswap_x2 v[2:3], v8, v[12:15], s[26:27] offset:32 glc
	s_waitcnt vmcnt(0)
	v_cmpx_ne_u64_e64 v[2:3], v[14:15]
	s_cbranch_execz .LBB3_1271
; %bb.1269:
	s_mov_b32 s11, 0
.LBB3_1270:                             ; =>This Inner Loop Header: Depth=1
	v_mov_b32_e32 v0, s6
	v_mov_b32_e32 v1, s7
	s_sleep 1
	global_store_dwordx2 v[4:5], v[2:3], off
	s_waitcnt_vscnt null, 0x0
	global_atomic_cmpswap_x2 v[0:1], v8, v[0:3], s[26:27] offset:32 glc
	s_waitcnt vmcnt(0)
	v_cmp_eq_u64_e32 vcc_lo, v[0:1], v[2:3]
	v_mov_b32_e32 v3, v1
	v_mov_b32_e32 v2, v0
	s_or_b32 s11, vcc_lo, s11
	s_andn2_b32 exec_lo, exec_lo, s11
	s_cbranch_execnz .LBB3_1270
.LBB3_1271:
	s_or_b32 exec_lo, exec_lo, s10
	v_mov_b32_e32 v3, 0
	s_mov_b32 s11, exec_lo
	s_mov_b32 s10, exec_lo
	v_mbcnt_lo_u32_b32 v2, s11, 0
	global_load_dwordx2 v[0:1], v3, s[26:27] offset:16
	v_cmpx_eq_u32_e32 0, v2
	s_cbranch_execz .LBB3_1273
; %bb.1272:
	s_bcnt1_i32_b32 s11, s11
	v_mov_b32_e32 v2, s11
	s_waitcnt vmcnt(0)
	global_atomic_add_x2 v[0:1], v[2:3], off offset:8
.LBB3_1273:
	s_or_b32 exec_lo, exec_lo, s10
	s_waitcnt vmcnt(0)
	global_load_dwordx2 v[2:3], v[0:1], off offset:16
	s_waitcnt vmcnt(0)
	v_cmp_eq_u64_e32 vcc_lo, 0, v[2:3]
	s_cbranch_vccnz .LBB3_1275
; %bb.1274:
	global_load_dword v0, v[0:1], off offset:24
	v_mov_b32_e32 v1, 0
	s_waitcnt vmcnt(0)
	v_and_b32_e32 v4, 0x7fffff, v0
	s_waitcnt_vscnt null, 0x0
	global_store_dwordx2 v[2:3], v[0:1], off
	v_readfirstlane_b32 m0, v4
	s_sendmsg sendmsg(MSG_INTERRUPT)
.LBB3_1275:
	s_or_b32 exec_lo, exec_lo, s5
	s_branch .LBB3_1279
	.p2align	6
.LBB3_1276:                             ;   in Loop: Header=BB3_1279 Depth=1
	s_or_b32 exec_lo, exec_lo, s5
	v_readfirstlane_b32 s5, v0
	s_cmp_eq_u32 s5, 0
	s_cbranch_scc1 .LBB3_1278
; %bb.1277:                             ;   in Loop: Header=BB3_1279 Depth=1
	s_sleep 1
	s_cbranch_execnz .LBB3_1279
	s_branch .LBB3_1281
	.p2align	6
.LBB3_1278:
	s_branch .LBB3_1281
.LBB3_1279:                             ; =>This Inner Loop Header: Depth=1
	v_mov_b32_e32 v0, 1
	s_and_saveexec_b32 s5, s4
	s_cbranch_execz .LBB3_1276
; %bb.1280:                             ;   in Loop: Header=BB3_1279 Depth=1
	global_load_dword v0, v[10:11], off offset:20 glc dlc
	s_waitcnt vmcnt(0)
	buffer_gl1_inv
	buffer_gl0_inv
	v_and_b32_e32 v0, 1, v0
	s_branch .LBB3_1276
.LBB3_1281:
	s_and_saveexec_b32 s5, s4
	s_cbranch_execz .LBB3_1285
; %bb.1282:
	v_mov_b32_e32 v6, 0
	s_clause 0x2
	global_load_dwordx2 v[2:3], v6, s[26:27] offset:40
	global_load_dwordx2 v[7:8], v6, s[26:27] offset:24 glc dlc
	global_load_dwordx2 v[4:5], v6, s[26:27]
	s_waitcnt vmcnt(2)
	v_add_co_u32 v9, vcc_lo, v2, 1
	v_add_co_ci_u32_e32 v10, vcc_lo, 0, v3, vcc_lo
	v_add_co_u32 v0, vcc_lo, v9, s6
	v_add_co_ci_u32_e32 v1, vcc_lo, s7, v10, vcc_lo
	v_cmp_eq_u64_e32 vcc_lo, 0, v[0:1]
	v_cndmask_b32_e32 v1, v1, v10, vcc_lo
	v_cndmask_b32_e32 v0, v0, v9, vcc_lo
	v_and_b32_e32 v3, v1, v3
	v_and_b32_e32 v2, v0, v2
	v_mul_lo_u32 v3, v3, 24
	v_mul_hi_u32 v9, v2, 24
	v_mul_lo_u32 v2, v2, 24
	v_add_nc_u32_e32 v3, v9, v3
	s_waitcnt vmcnt(0)
	v_add_co_u32 v4, vcc_lo, v4, v2
	v_mov_b32_e32 v2, v7
	v_add_co_ci_u32_e32 v5, vcc_lo, v5, v3, vcc_lo
	v_mov_b32_e32 v3, v8
	global_store_dwordx2 v[4:5], v[7:8], off
	s_waitcnt_vscnt null, 0x0
	global_atomic_cmpswap_x2 v[2:3], v6, v[0:3], s[26:27] offset:24 glc
	s_waitcnt vmcnt(0)
	v_cmp_ne_u64_e32 vcc_lo, v[2:3], v[7:8]
	s_and_b32 exec_lo, exec_lo, vcc_lo
	s_cbranch_execz .LBB3_1285
; %bb.1283:
	s_mov_b32 s4, 0
.LBB3_1284:                             ; =>This Inner Loop Header: Depth=1
	s_sleep 1
	global_store_dwordx2 v[4:5], v[2:3], off
	s_waitcnt_vscnt null, 0x0
	global_atomic_cmpswap_x2 v[7:8], v6, v[0:3], s[26:27] offset:24 glc
	s_waitcnt vmcnt(0)
	v_cmp_eq_u64_e32 vcc_lo, v[7:8], v[2:3]
	v_mov_b32_e32 v2, v7
	v_mov_b32_e32 v3, v8
	s_or_b32 s4, vcc_lo, s4
	s_andn2_b32 exec_lo, exec_lo, s4
	s_cbranch_execnz .LBB3_1284
.LBB3_1285:
	s_or_b32 exec_lo, exec_lo, s5
	v_readfirstlane_b32 s4, v50
	v_mov_b32_e32 v6, 0
	v_mov_b32_e32 v7, 0
	v_cmp_eq_u32_e64 s4, s4, v50
	s_and_saveexec_b32 s5, s4
	s_cbranch_execz .LBB3_1291
; %bb.1286:
	v_mov_b32_e32 v0, 0
	s_mov_b32 s6, exec_lo
	global_load_dwordx2 v[3:4], v0, s[26:27] offset:24 glc dlc
	s_waitcnt vmcnt(0)
	buffer_gl1_inv
	buffer_gl0_inv
	s_clause 0x1
	global_load_dwordx2 v[1:2], v0, s[26:27] offset:40
	global_load_dwordx2 v[5:6], v0, s[26:27]
	s_waitcnt vmcnt(1)
	v_and_b32_e32 v2, v2, v4
	v_and_b32_e32 v1, v1, v3
	v_mul_lo_u32 v2, v2, 24
	v_mul_hi_u32 v7, v1, 24
	v_mul_lo_u32 v1, v1, 24
	v_add_nc_u32_e32 v2, v7, v2
	s_waitcnt vmcnt(0)
	v_add_co_u32 v1, vcc_lo, v5, v1
	v_add_co_ci_u32_e32 v2, vcc_lo, v6, v2, vcc_lo
	global_load_dwordx2 v[1:2], v[1:2], off glc dlc
	s_waitcnt vmcnt(0)
	global_atomic_cmpswap_x2 v[6:7], v0, v[1:4], s[26:27] offset:24 glc
	s_waitcnt vmcnt(0)
	buffer_gl1_inv
	buffer_gl0_inv
	v_cmpx_ne_u64_e64 v[6:7], v[3:4]
	s_cbranch_execz .LBB3_1290
; %bb.1287:
	s_mov_b32 s7, 0
	.p2align	6
.LBB3_1288:                             ; =>This Inner Loop Header: Depth=1
	s_sleep 1
	s_clause 0x1
	global_load_dwordx2 v[1:2], v0, s[26:27] offset:40
	global_load_dwordx2 v[8:9], v0, s[26:27]
	v_mov_b32_e32 v3, v6
	v_mov_b32_e32 v4, v7
	s_waitcnt vmcnt(1)
	v_and_b32_e32 v1, v1, v3
	v_and_b32_e32 v2, v2, v4
	s_waitcnt vmcnt(0)
	v_mad_u64_u32 v[5:6], null, v1, 24, v[8:9]
	v_mov_b32_e32 v1, v6
	v_mad_u64_u32 v[1:2], null, v2, 24, v[1:2]
	v_mov_b32_e32 v6, v1
	global_load_dwordx2 v[1:2], v[5:6], off glc dlc
	s_waitcnt vmcnt(0)
	global_atomic_cmpswap_x2 v[6:7], v0, v[1:4], s[26:27] offset:24 glc
	s_waitcnt vmcnt(0)
	buffer_gl1_inv
	buffer_gl0_inv
	v_cmp_eq_u64_e32 vcc_lo, v[6:7], v[3:4]
	s_or_b32 s7, vcc_lo, s7
	s_andn2_b32 exec_lo, exec_lo, s7
	s_cbranch_execnz .LBB3_1288
; %bb.1289:
	s_or_b32 exec_lo, exec_lo, s7
.LBB3_1290:
	s_or_b32 exec_lo, exec_lo, s6
.LBB3_1291:
	s_or_b32 exec_lo, exec_lo, s5
	v_mov_b32_e32 v5, 0
	v_readfirstlane_b32 s6, v6
	v_readfirstlane_b32 s7, v7
	s_mov_b32 s5, exec_lo
	s_clause 0x1
	global_load_dwordx2 v[8:9], v5, s[26:27] offset:40
	global_load_dwordx4 v[0:3], v5, s[26:27]
	s_waitcnt vmcnt(1)
	v_readfirstlane_b32 s10, v8
	v_readfirstlane_b32 s11, v9
	s_and_b64 s[10:11], s[6:7], s[10:11]
	s_mul_i32 s16, s11, 24
	s_mul_hi_u32 s17, s10, 24
	s_mul_i32 s18, s10, 24
	s_add_i32 s17, s17, s16
	s_waitcnt vmcnt(0)
	v_add_co_u32 v8, vcc_lo, v0, s18
	v_add_co_ci_u32_e32 v9, vcc_lo, s17, v1, vcc_lo
	s_and_saveexec_b32 s16, s4
	s_cbranch_execz .LBB3_1293
; %bb.1292:
	v_mov_b32_e32 v4, s5
	v_mov_b32_e32 v6, 2
	;; [unrolled: 1-line block ×3, first 2 shown]
	global_store_dwordx4 v[8:9], v[4:7], off offset:8
.LBB3_1293:
	s_or_b32 exec_lo, exec_lo, s16
	s_lshl_b64 s[10:11], s[10:11], 12
	s_mov_b32 s16, 0
	v_add_co_u32 v2, vcc_lo, v2, s10
	v_add_co_ci_u32_e32 v3, vcc_lo, s11, v3, vcc_lo
	s_mov_b32 s17, s16
	v_add_co_u32 v10, vcc_lo, v2, v39
	s_mov_b32 s18, s16
	s_mov_b32 s19, s16
	v_mov_b32_e32 v4, 33
	v_mov_b32_e32 v6, v5
	v_mov_b32_e32 v7, v5
	v_readfirstlane_b32 s10, v2
	v_readfirstlane_b32 s11, v3
	v_mov_b32_e32 v12, s16
	v_add_co_ci_u32_e32 v11, vcc_lo, 0, v3, vcc_lo
	v_mov_b32_e32 v13, s17
	v_mov_b32_e32 v14, s18
	v_mov_b32_e32 v15, s19
	global_store_dwordx4 v39, v[4:7], s[10:11]
	global_store_dwordx4 v39, v[12:15], s[10:11] offset:16
	global_store_dwordx4 v39, v[12:15], s[10:11] offset:32
	;; [unrolled: 1-line block ×3, first 2 shown]
	s_and_saveexec_b32 s5, s4
	s_cbranch_execz .LBB3_1301
; %bb.1294:
	v_mov_b32_e32 v6, 0
	v_mov_b32_e32 v12, s6
	;; [unrolled: 1-line block ×3, first 2 shown]
	s_clause 0x1
	global_load_dwordx2 v[14:15], v6, s[26:27] offset:32 glc dlc
	global_load_dwordx2 v[2:3], v6, s[26:27] offset:40
	s_waitcnt vmcnt(0)
	v_readfirstlane_b32 s10, v2
	v_readfirstlane_b32 s11, v3
	s_and_b64 s[10:11], s[10:11], s[6:7]
	s_mul_i32 s11, s11, 24
	s_mul_hi_u32 s16, s10, 24
	s_mul_i32 s10, s10, 24
	s_add_i32 s16, s16, s11
	v_add_co_u32 v4, vcc_lo, v0, s10
	v_add_co_ci_u32_e32 v5, vcc_lo, s16, v1, vcc_lo
	s_mov_b32 s10, exec_lo
	global_store_dwordx2 v[4:5], v[14:15], off
	s_waitcnt_vscnt null, 0x0
	global_atomic_cmpswap_x2 v[2:3], v6, v[12:15], s[26:27] offset:32 glc
	s_waitcnt vmcnt(0)
	v_cmpx_ne_u64_e64 v[2:3], v[14:15]
	s_cbranch_execz .LBB3_1297
; %bb.1295:
	s_mov_b32 s11, 0
.LBB3_1296:                             ; =>This Inner Loop Header: Depth=1
	v_mov_b32_e32 v0, s6
	v_mov_b32_e32 v1, s7
	s_sleep 1
	global_store_dwordx2 v[4:5], v[2:3], off
	s_waitcnt_vscnt null, 0x0
	global_atomic_cmpswap_x2 v[0:1], v6, v[0:3], s[26:27] offset:32 glc
	s_waitcnt vmcnt(0)
	v_cmp_eq_u64_e32 vcc_lo, v[0:1], v[2:3]
	v_mov_b32_e32 v3, v1
	v_mov_b32_e32 v2, v0
	s_or_b32 s11, vcc_lo, s11
	s_andn2_b32 exec_lo, exec_lo, s11
	s_cbranch_execnz .LBB3_1296
.LBB3_1297:
	s_or_b32 exec_lo, exec_lo, s10
	v_mov_b32_e32 v3, 0
	s_mov_b32 s11, exec_lo
	s_mov_b32 s10, exec_lo
	v_mbcnt_lo_u32_b32 v2, s11, 0
	global_load_dwordx2 v[0:1], v3, s[26:27] offset:16
	v_cmpx_eq_u32_e32 0, v2
	s_cbranch_execz .LBB3_1299
; %bb.1298:
	s_bcnt1_i32_b32 s11, s11
	v_mov_b32_e32 v2, s11
	s_waitcnt vmcnt(0)
	global_atomic_add_x2 v[0:1], v[2:3], off offset:8
.LBB3_1299:
	s_or_b32 exec_lo, exec_lo, s10
	s_waitcnt vmcnt(0)
	global_load_dwordx2 v[2:3], v[0:1], off offset:16
	s_waitcnt vmcnt(0)
	v_cmp_eq_u64_e32 vcc_lo, 0, v[2:3]
	s_cbranch_vccnz .LBB3_1301
; %bb.1300:
	global_load_dword v0, v[0:1], off offset:24
	v_mov_b32_e32 v1, 0
	s_waitcnt vmcnt(0)
	v_and_b32_e32 v4, 0x7fffff, v0
	s_waitcnt_vscnt null, 0x0
	global_store_dwordx2 v[2:3], v[0:1], off
	v_readfirstlane_b32 m0, v4
	s_sendmsg sendmsg(MSG_INTERRUPT)
.LBB3_1301:
	s_or_b32 exec_lo, exec_lo, s5
	s_branch .LBB3_1305
	.p2align	6
.LBB3_1302:                             ;   in Loop: Header=BB3_1305 Depth=1
	s_or_b32 exec_lo, exec_lo, s5
	v_readfirstlane_b32 s5, v0
	s_cmp_eq_u32 s5, 0
	s_cbranch_scc1 .LBB3_1304
; %bb.1303:                             ;   in Loop: Header=BB3_1305 Depth=1
	s_sleep 1
	s_cbranch_execnz .LBB3_1305
	s_branch .LBB3_1307
	.p2align	6
.LBB3_1304:
	s_branch .LBB3_1307
.LBB3_1305:                             ; =>This Inner Loop Header: Depth=1
	v_mov_b32_e32 v0, 1
	s_and_saveexec_b32 s5, s4
	s_cbranch_execz .LBB3_1302
; %bb.1306:                             ;   in Loop: Header=BB3_1305 Depth=1
	global_load_dword v0, v[8:9], off offset:20 glc dlc
	s_waitcnt vmcnt(0)
	buffer_gl1_inv
	buffer_gl0_inv
	v_and_b32_e32 v0, 1, v0
	s_branch .LBB3_1302
.LBB3_1307:
	global_load_dwordx2 v[4:5], v[10:11], off
	s_and_saveexec_b32 s5, s4
	s_cbranch_execz .LBB3_1311
; %bb.1308:
	v_mov_b32_e32 v8, 0
	s_clause 0x2
	global_load_dwordx2 v[2:3], v8, s[26:27] offset:40
	global_load_dwordx2 v[9:10], v8, s[26:27] offset:24 glc dlc
	global_load_dwordx2 v[6:7], v8, s[26:27]
	s_waitcnt vmcnt(2)
	v_add_co_u32 v11, vcc_lo, v2, 1
	v_add_co_ci_u32_e32 v12, vcc_lo, 0, v3, vcc_lo
	v_add_co_u32 v0, vcc_lo, v11, s6
	v_add_co_ci_u32_e32 v1, vcc_lo, s7, v12, vcc_lo
	v_cmp_eq_u64_e32 vcc_lo, 0, v[0:1]
	v_cndmask_b32_e32 v1, v1, v12, vcc_lo
	v_cndmask_b32_e32 v0, v0, v11, vcc_lo
	v_and_b32_e32 v3, v1, v3
	v_and_b32_e32 v2, v0, v2
	v_mul_lo_u32 v3, v3, 24
	v_mul_hi_u32 v11, v2, 24
	v_mul_lo_u32 v2, v2, 24
	v_add_nc_u32_e32 v3, v11, v3
	s_waitcnt vmcnt(0)
	v_add_co_u32 v6, vcc_lo, v6, v2
	v_mov_b32_e32 v2, v9
	v_add_co_ci_u32_e32 v7, vcc_lo, v7, v3, vcc_lo
	v_mov_b32_e32 v3, v10
	global_store_dwordx2 v[6:7], v[9:10], off
	s_waitcnt_vscnt null, 0x0
	global_atomic_cmpswap_x2 v[2:3], v8, v[0:3], s[26:27] offset:24 glc
	s_waitcnt vmcnt(0)
	v_cmp_ne_u64_e32 vcc_lo, v[2:3], v[9:10]
	s_and_b32 exec_lo, exec_lo, vcc_lo
	s_cbranch_execz .LBB3_1311
; %bb.1309:
	s_mov_b32 s4, 0
.LBB3_1310:                             ; =>This Inner Loop Header: Depth=1
	s_sleep 1
	global_store_dwordx2 v[6:7], v[2:3], off
	s_waitcnt_vscnt null, 0x0
	global_atomic_cmpswap_x2 v[9:10], v8, v[0:3], s[26:27] offset:24 glc
	s_waitcnt vmcnt(0)
	v_cmp_eq_u64_e32 vcc_lo, v[9:10], v[2:3]
	v_mov_b32_e32 v2, v9
	v_mov_b32_e32 v3, v10
	s_or_b32 s4, vcc_lo, s4
	s_andn2_b32 exec_lo, exec_lo, s4
	s_cbranch_execnz .LBB3_1310
.LBB3_1311:
	s_or_b32 exec_lo, exec_lo, s5
	s_and_b32 vcc_lo, exec_lo, s15
	s_cbranch_vccz .LBB3_1390
; %bb.1312:
	s_waitcnt vmcnt(0)
	v_and_b32_e32 v28, 2, v4
	v_mov_b32_e32 v7, 0
	v_and_b32_e32 v0, -3, v4
	v_mov_b32_e32 v1, v5
	v_mov_b32_e32 v8, 2
	;; [unrolled: 1-line block ×3, first 2 shown]
	s_mov_b64 s[10:11], 3
	s_getpc_b64 s[6:7]
	s_add_u32 s6, s6, .str.5@rel32@lo+4
	s_addc_u32 s7, s7, .str.5@rel32@hi+12
	s_branch .LBB3_1314
.LBB3_1313:                             ;   in Loop: Header=BB3_1314 Depth=1
	s_or_b32 exec_lo, exec_lo, s5
	s_sub_u32 s10, s10, s16
	s_subb_u32 s11, s11, s17
	s_add_u32 s6, s6, s16
	s_addc_u32 s7, s7, s17
	s_cmp_lg_u64 s[10:11], 0
	s_cbranch_scc0 .LBB3_1389
.LBB3_1314:                             ; =>This Loop Header: Depth=1
                                        ;     Child Loop BB3_1323 Depth 2
                                        ;     Child Loop BB3_1319 Depth 2
	;; [unrolled: 1-line block ×11, first 2 shown]
	v_cmp_lt_u64_e64 s4, s[10:11], 56
	v_cmp_gt_u64_e64 s5, s[10:11], 7
                                        ; implicit-def: $vgpr2_vgpr3
                                        ; implicit-def: $sgpr15
	s_and_b32 s4, s4, exec_lo
	s_cselect_b32 s17, s11, 0
	s_cselect_b32 s16, s10, 56
	s_and_b32 vcc_lo, exec_lo, s5
	s_mov_b32 s4, -1
	s_cbranch_vccz .LBB3_1321
; %bb.1315:                             ;   in Loop: Header=BB3_1314 Depth=1
	s_andn2_b32 vcc_lo, exec_lo, s4
	s_mov_b64 s[4:5], s[6:7]
	s_cbranch_vccz .LBB3_1325
.LBB3_1316:                             ;   in Loop: Header=BB3_1314 Depth=1
	s_cmp_gt_u32 s15, 7
	s_cbranch_scc1 .LBB3_1326
.LBB3_1317:                             ;   in Loop: Header=BB3_1314 Depth=1
	v_mov_b32_e32 v10, 0
	v_mov_b32_e32 v11, 0
	s_cmp_eq_u32 s15, 0
	s_cbranch_scc1 .LBB3_1320
; %bb.1318:                             ;   in Loop: Header=BB3_1314 Depth=1
	s_mov_b64 s[18:19], 0
	s_mov_b64 s[20:21], 0
.LBB3_1319:                             ;   Parent Loop BB3_1314 Depth=1
                                        ; =>  This Inner Loop Header: Depth=2
	s_add_u32 s22, s4, s20
	s_addc_u32 s23, s5, s21
	s_add_u32 s20, s20, 1
	global_load_ubyte v6, v7, s[22:23]
	s_addc_u32 s21, s21, 0
	s_waitcnt vmcnt(0)
	v_and_b32_e32 v6, 0xffff, v6
	v_lshlrev_b64 v[12:13], s18, v[6:7]
	s_add_u32 s18, s18, 8
	s_addc_u32 s19, s19, 0
	s_cmp_lg_u32 s15, s20
	v_or_b32_e32 v10, v12, v10
	v_or_b32_e32 v11, v13, v11
	s_cbranch_scc1 .LBB3_1319
.LBB3_1320:                             ;   in Loop: Header=BB3_1314 Depth=1
	s_mov_b32 s22, 0
	s_cbranch_execz .LBB3_1327
	s_branch .LBB3_1328
.LBB3_1321:                             ;   in Loop: Header=BB3_1314 Depth=1
	s_waitcnt vmcnt(0)
	v_mov_b32_e32 v2, 0
	v_mov_b32_e32 v3, 0
	s_cmp_eq_u64 s[10:11], 0
	s_mov_b64 s[4:5], 0
	s_cbranch_scc1 .LBB3_1324
; %bb.1322:                             ;   in Loop: Header=BB3_1314 Depth=1
	v_mov_b32_e32 v2, 0
	v_mov_b32_e32 v3, 0
	s_lshl_b64 s[18:19], s[16:17], 3
	s_mov_b64 s[20:21], s[6:7]
.LBB3_1323:                             ;   Parent Loop BB3_1314 Depth=1
                                        ; =>  This Inner Loop Header: Depth=2
	global_load_ubyte v6, v7, s[20:21]
	s_waitcnt vmcnt(0)
	v_and_b32_e32 v6, 0xffff, v6
	v_lshlrev_b64 v[10:11], s4, v[6:7]
	s_add_u32 s4, s4, 8
	s_addc_u32 s5, s5, 0
	s_add_u32 s20, s20, 1
	s_addc_u32 s21, s21, 0
	s_cmp_lg_u32 s18, s4
	v_or_b32_e32 v2, v10, v2
	v_or_b32_e32 v3, v11, v3
	s_cbranch_scc1 .LBB3_1323
.LBB3_1324:                             ;   in Loop: Header=BB3_1314 Depth=1
	s_mov_b32 s15, 0
	s_mov_b64 s[4:5], s[6:7]
	s_cbranch_execnz .LBB3_1316
.LBB3_1325:                             ;   in Loop: Header=BB3_1314 Depth=1
	global_load_dwordx2 v[2:3], v7, s[6:7]
	s_add_i32 s15, s16, -8
	s_add_u32 s4, s6, 8
	s_addc_u32 s5, s7, 0
	s_cmp_gt_u32 s15, 7
	s_cbranch_scc0 .LBB3_1317
.LBB3_1326:                             ;   in Loop: Header=BB3_1314 Depth=1
                                        ; implicit-def: $vgpr10_vgpr11
                                        ; implicit-def: $sgpr22
.LBB3_1327:                             ;   in Loop: Header=BB3_1314 Depth=1
	global_load_dwordx2 v[10:11], v7, s[4:5]
	s_add_i32 s22, s15, -8
	s_add_u32 s4, s4, 8
	s_addc_u32 s5, s5, 0
.LBB3_1328:                             ;   in Loop: Header=BB3_1314 Depth=1
	s_cmp_gt_u32 s22, 7
	s_cbranch_scc1 .LBB3_1333
; %bb.1329:                             ;   in Loop: Header=BB3_1314 Depth=1
	v_mov_b32_e32 v12, 0
	v_mov_b32_e32 v13, 0
	s_cmp_eq_u32 s22, 0
	s_cbranch_scc1 .LBB3_1332
; %bb.1330:                             ;   in Loop: Header=BB3_1314 Depth=1
	s_mov_b64 s[18:19], 0
	s_mov_b64 s[20:21], 0
.LBB3_1331:                             ;   Parent Loop BB3_1314 Depth=1
                                        ; =>  This Inner Loop Header: Depth=2
	s_add_u32 s24, s4, s20
	s_addc_u32 s25, s5, s21
	s_add_u32 s20, s20, 1
	global_load_ubyte v6, v7, s[24:25]
	s_addc_u32 s21, s21, 0
	s_waitcnt vmcnt(0)
	v_and_b32_e32 v6, 0xffff, v6
	v_lshlrev_b64 v[14:15], s18, v[6:7]
	s_add_u32 s18, s18, 8
	s_addc_u32 s19, s19, 0
	s_cmp_lg_u32 s22, s20
	v_or_b32_e32 v12, v14, v12
	v_or_b32_e32 v13, v15, v13
	s_cbranch_scc1 .LBB3_1331
.LBB3_1332:                             ;   in Loop: Header=BB3_1314 Depth=1
	s_mov_b32 s15, 0
	s_cbranch_execz .LBB3_1334
	s_branch .LBB3_1335
.LBB3_1333:                             ;   in Loop: Header=BB3_1314 Depth=1
                                        ; implicit-def: $sgpr15
.LBB3_1334:                             ;   in Loop: Header=BB3_1314 Depth=1
	global_load_dwordx2 v[12:13], v7, s[4:5]
	s_add_i32 s15, s22, -8
	s_add_u32 s4, s4, 8
	s_addc_u32 s5, s5, 0
.LBB3_1335:                             ;   in Loop: Header=BB3_1314 Depth=1
	s_cmp_gt_u32 s15, 7
	s_cbranch_scc1 .LBB3_1340
; %bb.1336:                             ;   in Loop: Header=BB3_1314 Depth=1
	v_mov_b32_e32 v14, 0
	v_mov_b32_e32 v15, 0
	s_cmp_eq_u32 s15, 0
	s_cbranch_scc1 .LBB3_1339
; %bb.1337:                             ;   in Loop: Header=BB3_1314 Depth=1
	s_mov_b64 s[18:19], 0
	s_mov_b64 s[20:21], 0
.LBB3_1338:                             ;   Parent Loop BB3_1314 Depth=1
                                        ; =>  This Inner Loop Header: Depth=2
	s_add_u32 s22, s4, s20
	s_addc_u32 s23, s5, s21
	s_add_u32 s20, s20, 1
	global_load_ubyte v6, v7, s[22:23]
	s_addc_u32 s21, s21, 0
	s_waitcnt vmcnt(0)
	v_and_b32_e32 v6, 0xffff, v6
	v_lshlrev_b64 v[16:17], s18, v[6:7]
	s_add_u32 s18, s18, 8
	s_addc_u32 s19, s19, 0
	s_cmp_lg_u32 s15, s20
	v_or_b32_e32 v14, v16, v14
	v_or_b32_e32 v15, v17, v15
	s_cbranch_scc1 .LBB3_1338
.LBB3_1339:                             ;   in Loop: Header=BB3_1314 Depth=1
	s_mov_b32 s22, 0
	s_cbranch_execz .LBB3_1341
	s_branch .LBB3_1342
.LBB3_1340:                             ;   in Loop: Header=BB3_1314 Depth=1
                                        ; implicit-def: $vgpr14_vgpr15
                                        ; implicit-def: $sgpr22
.LBB3_1341:                             ;   in Loop: Header=BB3_1314 Depth=1
	global_load_dwordx2 v[14:15], v7, s[4:5]
	s_add_i32 s22, s15, -8
	s_add_u32 s4, s4, 8
	s_addc_u32 s5, s5, 0
.LBB3_1342:                             ;   in Loop: Header=BB3_1314 Depth=1
	s_cmp_gt_u32 s22, 7
	s_cbranch_scc1 .LBB3_1347
; %bb.1343:                             ;   in Loop: Header=BB3_1314 Depth=1
	v_mov_b32_e32 v16, 0
	v_mov_b32_e32 v17, 0
	s_cmp_eq_u32 s22, 0
	s_cbranch_scc1 .LBB3_1346
; %bb.1344:                             ;   in Loop: Header=BB3_1314 Depth=1
	s_mov_b64 s[18:19], 0
	s_mov_b64 s[20:21], 0
.LBB3_1345:                             ;   Parent Loop BB3_1314 Depth=1
                                        ; =>  This Inner Loop Header: Depth=2
	s_add_u32 s24, s4, s20
	s_addc_u32 s25, s5, s21
	s_add_u32 s20, s20, 1
	global_load_ubyte v6, v7, s[24:25]
	s_addc_u32 s21, s21, 0
	s_waitcnt vmcnt(0)
	v_and_b32_e32 v6, 0xffff, v6
	v_lshlrev_b64 v[18:19], s18, v[6:7]
	s_add_u32 s18, s18, 8
	s_addc_u32 s19, s19, 0
	s_cmp_lg_u32 s22, s20
	v_or_b32_e32 v16, v18, v16
	v_or_b32_e32 v17, v19, v17
	s_cbranch_scc1 .LBB3_1345
.LBB3_1346:                             ;   in Loop: Header=BB3_1314 Depth=1
	s_mov_b32 s15, 0
	s_cbranch_execz .LBB3_1348
	s_branch .LBB3_1349
.LBB3_1347:                             ;   in Loop: Header=BB3_1314 Depth=1
                                        ; implicit-def: $sgpr15
.LBB3_1348:                             ;   in Loop: Header=BB3_1314 Depth=1
	global_load_dwordx2 v[16:17], v7, s[4:5]
	s_add_i32 s15, s22, -8
	s_add_u32 s4, s4, 8
	s_addc_u32 s5, s5, 0
.LBB3_1349:                             ;   in Loop: Header=BB3_1314 Depth=1
	s_cmp_gt_u32 s15, 7
	s_cbranch_scc1 .LBB3_1354
; %bb.1350:                             ;   in Loop: Header=BB3_1314 Depth=1
	v_mov_b32_e32 v18, 0
	v_mov_b32_e32 v19, 0
	s_cmp_eq_u32 s15, 0
	s_cbranch_scc1 .LBB3_1353
; %bb.1351:                             ;   in Loop: Header=BB3_1314 Depth=1
	s_mov_b64 s[18:19], 0
	s_mov_b64 s[20:21], 0
.LBB3_1352:                             ;   Parent Loop BB3_1314 Depth=1
                                        ; =>  This Inner Loop Header: Depth=2
	s_add_u32 s22, s4, s20
	s_addc_u32 s23, s5, s21
	s_add_u32 s20, s20, 1
	global_load_ubyte v6, v7, s[22:23]
	s_addc_u32 s21, s21, 0
	s_waitcnt vmcnt(0)
	v_and_b32_e32 v6, 0xffff, v6
	v_lshlrev_b64 v[20:21], s18, v[6:7]
	s_add_u32 s18, s18, 8
	s_addc_u32 s19, s19, 0
	s_cmp_lg_u32 s15, s20
	v_or_b32_e32 v18, v20, v18
	v_or_b32_e32 v19, v21, v19
	s_cbranch_scc1 .LBB3_1352
.LBB3_1353:                             ;   in Loop: Header=BB3_1314 Depth=1
	s_mov_b32 s22, 0
	s_cbranch_execz .LBB3_1355
	s_branch .LBB3_1356
.LBB3_1354:                             ;   in Loop: Header=BB3_1314 Depth=1
                                        ; implicit-def: $vgpr18_vgpr19
                                        ; implicit-def: $sgpr22
.LBB3_1355:                             ;   in Loop: Header=BB3_1314 Depth=1
	global_load_dwordx2 v[18:19], v7, s[4:5]
	s_add_i32 s22, s15, -8
	s_add_u32 s4, s4, 8
	s_addc_u32 s5, s5, 0
.LBB3_1356:                             ;   in Loop: Header=BB3_1314 Depth=1
	s_cmp_gt_u32 s22, 7
	s_cbranch_scc1 .LBB3_1361
; %bb.1357:                             ;   in Loop: Header=BB3_1314 Depth=1
	v_mov_b32_e32 v20, 0
	v_mov_b32_e32 v21, 0
	s_cmp_eq_u32 s22, 0
	s_cbranch_scc1 .LBB3_1360
; %bb.1358:                             ;   in Loop: Header=BB3_1314 Depth=1
	s_mov_b64 s[18:19], 0
	s_mov_b64 s[20:21], s[4:5]
.LBB3_1359:                             ;   Parent Loop BB3_1314 Depth=1
                                        ; =>  This Inner Loop Header: Depth=2
	global_load_ubyte v6, v7, s[20:21]
	s_add_i32 s22, s22, -1
	s_waitcnt vmcnt(0)
	v_and_b32_e32 v6, 0xffff, v6
	v_lshlrev_b64 v[22:23], s18, v[6:7]
	s_add_u32 s18, s18, 8
	s_addc_u32 s19, s19, 0
	s_add_u32 s20, s20, 1
	s_addc_u32 s21, s21, 0
	s_cmp_lg_u32 s22, 0
	v_or_b32_e32 v20, v22, v20
	v_or_b32_e32 v21, v23, v21
	s_cbranch_scc1 .LBB3_1359
.LBB3_1360:                             ;   in Loop: Header=BB3_1314 Depth=1
	s_cbranch_execz .LBB3_1362
	s_branch .LBB3_1363
.LBB3_1361:                             ;   in Loop: Header=BB3_1314 Depth=1
.LBB3_1362:                             ;   in Loop: Header=BB3_1314 Depth=1
	global_load_dwordx2 v[20:21], v7, s[4:5]
.LBB3_1363:                             ;   in Loop: Header=BB3_1314 Depth=1
	v_readfirstlane_b32 s4, v50
	v_mov_b32_e32 v26, 0
	v_mov_b32_e32 v27, 0
	v_cmp_eq_u32_e64 s4, s4, v50
	s_and_saveexec_b32 s5, s4
	s_cbranch_execz .LBB3_1369
; %bb.1364:                             ;   in Loop: Header=BB3_1314 Depth=1
	global_load_dwordx2 v[24:25], v7, s[26:27] offset:24 glc dlc
	s_waitcnt vmcnt(0)
	buffer_gl1_inv
	buffer_gl0_inv
	s_clause 0x1
	global_load_dwordx2 v[22:23], v7, s[26:27] offset:40
	global_load_dwordx2 v[26:27], v7, s[26:27]
	s_mov_b32 s15, exec_lo
	s_waitcnt vmcnt(1)
	v_and_b32_e32 v6, v23, v25
	v_and_b32_e32 v22, v22, v24
	v_mul_lo_u32 v6, v6, 24
	v_mul_hi_u32 v23, v22, 24
	v_mul_lo_u32 v22, v22, 24
	v_add_nc_u32_e32 v6, v23, v6
	s_waitcnt vmcnt(0)
	v_add_co_u32 v22, vcc_lo, v26, v22
	v_add_co_ci_u32_e32 v23, vcc_lo, v27, v6, vcc_lo
	global_load_dwordx2 v[22:23], v[22:23], off glc dlc
	s_waitcnt vmcnt(0)
	global_atomic_cmpswap_x2 v[26:27], v7, v[22:25], s[26:27] offset:24 glc
	s_waitcnt vmcnt(0)
	buffer_gl1_inv
	buffer_gl0_inv
	v_cmpx_ne_u64_e64 v[26:27], v[24:25]
	s_cbranch_execz .LBB3_1368
; %bb.1365:                             ;   in Loop: Header=BB3_1314 Depth=1
	s_mov_b32 s18, 0
	.p2align	6
.LBB3_1366:                             ;   Parent Loop BB3_1314 Depth=1
                                        ; =>  This Inner Loop Header: Depth=2
	s_sleep 1
	s_clause 0x1
	global_load_dwordx2 v[22:23], v7, s[26:27] offset:40
	global_load_dwordx2 v[29:30], v7, s[26:27]
	v_mov_b32_e32 v24, v26
	v_mov_b32_e32 v25, v27
	s_waitcnt vmcnt(1)
	v_and_b32_e32 v6, v22, v24
	v_and_b32_e32 v22, v23, v25
	s_waitcnt vmcnt(0)
	v_mad_u64_u32 v[26:27], null, v6, 24, v[29:30]
	v_mov_b32_e32 v6, v27
	v_mad_u64_u32 v[22:23], null, v22, 24, v[6:7]
	v_mov_b32_e32 v27, v22
	global_load_dwordx2 v[22:23], v[26:27], off glc dlc
	s_waitcnt vmcnt(0)
	global_atomic_cmpswap_x2 v[26:27], v7, v[22:25], s[26:27] offset:24 glc
	s_waitcnt vmcnt(0)
	buffer_gl1_inv
	buffer_gl0_inv
	v_cmp_eq_u64_e32 vcc_lo, v[26:27], v[24:25]
	s_or_b32 s18, vcc_lo, s18
	s_andn2_b32 exec_lo, exec_lo, s18
	s_cbranch_execnz .LBB3_1366
; %bb.1367:                             ;   in Loop: Header=BB3_1314 Depth=1
	s_or_b32 exec_lo, exec_lo, s18
.LBB3_1368:                             ;   in Loop: Header=BB3_1314 Depth=1
	s_or_b32 exec_lo, exec_lo, s15
.LBB3_1369:                             ;   in Loop: Header=BB3_1314 Depth=1
	s_or_b32 exec_lo, exec_lo, s5
	s_clause 0x1
	global_load_dwordx2 v[29:30], v7, s[26:27] offset:40
	global_load_dwordx4 v[22:25], v7, s[26:27]
	v_readfirstlane_b32 s18, v26
	v_readfirstlane_b32 s19, v27
	s_mov_b32 s5, exec_lo
	s_waitcnt vmcnt(1)
	v_readfirstlane_b32 s20, v29
	v_readfirstlane_b32 s21, v30
	s_and_b64 s[20:21], s[18:19], s[20:21]
	s_mul_i32 s15, s21, 24
	s_mul_hi_u32 s22, s20, 24
	s_mul_i32 s23, s20, 24
	s_add_i32 s22, s22, s15
	s_waitcnt vmcnt(0)
	v_add_co_u32 v26, vcc_lo, v22, s23
	v_add_co_ci_u32_e32 v27, vcc_lo, s22, v23, vcc_lo
	s_and_saveexec_b32 s15, s4
	s_cbranch_execz .LBB3_1371
; %bb.1370:                             ;   in Loop: Header=BB3_1314 Depth=1
	v_mov_b32_e32 v6, s5
	global_store_dwordx4 v[26:27], v[6:9], off offset:8
.LBB3_1371:                             ;   in Loop: Header=BB3_1314 Depth=1
	s_or_b32 exec_lo, exec_lo, s15
	s_lshl_b64 s[20:21], s[20:21], 12
	v_cmp_gt_u64_e64 vcc_lo, s[10:11], 56
	v_or_b32_e32 v29, v0, v28
	v_add_co_u32 v24, s5, v24, s20
	v_add_co_ci_u32_e64 v25, s5, s21, v25, s5
	s_lshl_b32 s5, s16, 2
	v_or_b32_e32 v6, 0, v1
	v_cndmask_b32_e32 v0, v29, v0, vcc_lo
	s_add_i32 s5, s5, 28
	v_readfirstlane_b32 s20, v24
	s_and_b32 s5, s5, 0x1e0
	v_cndmask_b32_e32 v1, v6, v1, vcc_lo
	v_readfirstlane_b32 s21, v25
	v_and_or_b32 v0, 0xffffff1f, v0, s5
	global_store_dwordx4 v39, v[0:3], s[20:21]
	global_store_dwordx4 v39, v[10:13], s[20:21] offset:16
	global_store_dwordx4 v39, v[14:17], s[20:21] offset:32
	;; [unrolled: 1-line block ×3, first 2 shown]
	s_and_saveexec_b32 s5, s4
	s_cbranch_execz .LBB3_1379
; %bb.1372:                             ;   in Loop: Header=BB3_1314 Depth=1
	s_clause 0x1
	global_load_dwordx2 v[14:15], v7, s[26:27] offset:32 glc dlc
	global_load_dwordx2 v[0:1], v7, s[26:27] offset:40
	v_mov_b32_e32 v12, s18
	v_mov_b32_e32 v13, s19
	s_waitcnt vmcnt(0)
	v_readfirstlane_b32 s20, v0
	v_readfirstlane_b32 s21, v1
	s_and_b64 s[20:21], s[20:21], s[18:19]
	s_mul_i32 s15, s21, 24
	s_mul_hi_u32 s21, s20, 24
	s_mul_i32 s20, s20, 24
	s_add_i32 s21, s21, s15
	v_add_co_u32 v10, vcc_lo, v22, s20
	v_add_co_ci_u32_e32 v11, vcc_lo, s21, v23, vcc_lo
	s_mov_b32 s15, exec_lo
	global_store_dwordx2 v[10:11], v[14:15], off
	s_waitcnt_vscnt null, 0x0
	global_atomic_cmpswap_x2 v[2:3], v7, v[12:15], s[26:27] offset:32 glc
	s_waitcnt vmcnt(0)
	v_cmpx_ne_u64_e64 v[2:3], v[14:15]
	s_cbranch_execz .LBB3_1375
; %bb.1373:                             ;   in Loop: Header=BB3_1314 Depth=1
	s_mov_b32 s20, 0
.LBB3_1374:                             ;   Parent Loop BB3_1314 Depth=1
                                        ; =>  This Inner Loop Header: Depth=2
	v_mov_b32_e32 v0, s18
	v_mov_b32_e32 v1, s19
	s_sleep 1
	global_store_dwordx2 v[10:11], v[2:3], off
	s_waitcnt_vscnt null, 0x0
	global_atomic_cmpswap_x2 v[0:1], v7, v[0:3], s[26:27] offset:32 glc
	s_waitcnt vmcnt(0)
	v_cmp_eq_u64_e32 vcc_lo, v[0:1], v[2:3]
	v_mov_b32_e32 v3, v1
	v_mov_b32_e32 v2, v0
	s_or_b32 s20, vcc_lo, s20
	s_andn2_b32 exec_lo, exec_lo, s20
	s_cbranch_execnz .LBB3_1374
.LBB3_1375:                             ;   in Loop: Header=BB3_1314 Depth=1
	s_or_b32 exec_lo, exec_lo, s15
	global_load_dwordx2 v[0:1], v7, s[26:27] offset:16
	s_mov_b32 s20, exec_lo
	s_mov_b32 s15, exec_lo
	v_mbcnt_lo_u32_b32 v2, s20, 0
	v_cmpx_eq_u32_e32 0, v2
	s_cbranch_execz .LBB3_1377
; %bb.1376:                             ;   in Loop: Header=BB3_1314 Depth=1
	s_bcnt1_i32_b32 s20, s20
	v_mov_b32_e32 v6, s20
	s_waitcnt vmcnt(0)
	global_atomic_add_x2 v[0:1], v[6:7], off offset:8
.LBB3_1377:                             ;   in Loop: Header=BB3_1314 Depth=1
	s_or_b32 exec_lo, exec_lo, s15
	s_waitcnt vmcnt(0)
	global_load_dwordx2 v[2:3], v[0:1], off offset:16
	s_waitcnt vmcnt(0)
	v_cmp_eq_u64_e32 vcc_lo, 0, v[2:3]
	s_cbranch_vccnz .LBB3_1379
; %bb.1378:                             ;   in Loop: Header=BB3_1314 Depth=1
	global_load_dword v6, v[0:1], off offset:24
	s_waitcnt vmcnt(0)
	v_and_b32_e32 v0, 0x7fffff, v6
	s_waitcnt_vscnt null, 0x0
	global_store_dwordx2 v[2:3], v[6:7], off
	v_readfirstlane_b32 m0, v0
	s_sendmsg sendmsg(MSG_INTERRUPT)
.LBB3_1379:                             ;   in Loop: Header=BB3_1314 Depth=1
	s_or_b32 exec_lo, exec_lo, s5
	v_add_co_u32 v0, vcc_lo, v24, v39
	v_add_co_ci_u32_e32 v1, vcc_lo, 0, v25, vcc_lo
	s_branch .LBB3_1383
	.p2align	6
.LBB3_1380:                             ;   in Loop: Header=BB3_1383 Depth=2
	s_or_b32 exec_lo, exec_lo, s5
	v_readfirstlane_b32 s5, v2
	s_cmp_eq_u32 s5, 0
	s_cbranch_scc1 .LBB3_1382
; %bb.1381:                             ;   in Loop: Header=BB3_1383 Depth=2
	s_sleep 1
	s_cbranch_execnz .LBB3_1383
	s_branch .LBB3_1385
	.p2align	6
.LBB3_1382:                             ;   in Loop: Header=BB3_1314 Depth=1
	s_branch .LBB3_1385
.LBB3_1383:                             ;   Parent Loop BB3_1314 Depth=1
                                        ; =>  This Inner Loop Header: Depth=2
	v_mov_b32_e32 v2, 1
	s_and_saveexec_b32 s5, s4
	s_cbranch_execz .LBB3_1380
; %bb.1384:                             ;   in Loop: Header=BB3_1383 Depth=2
	global_load_dword v2, v[26:27], off offset:20 glc dlc
	s_waitcnt vmcnt(0)
	buffer_gl1_inv
	buffer_gl0_inv
	v_and_b32_e32 v2, 1, v2
	s_branch .LBB3_1380
.LBB3_1385:                             ;   in Loop: Header=BB3_1314 Depth=1
	global_load_dwordx4 v[0:3], v[0:1], off
	s_and_saveexec_b32 s5, s4
	s_cbranch_execz .LBB3_1313
; %bb.1386:                             ;   in Loop: Header=BB3_1314 Depth=1
	s_clause 0x2
	global_load_dwordx2 v[2:3], v7, s[26:27] offset:40
	global_load_dwordx2 v[14:15], v7, s[26:27] offset:24 glc dlc
	global_load_dwordx2 v[12:13], v7, s[26:27]
	s_waitcnt vmcnt(2)
	v_add_co_u32 v6, vcc_lo, v2, 1
	v_add_co_ci_u32_e32 v16, vcc_lo, 0, v3, vcc_lo
	v_add_co_u32 v10, vcc_lo, v6, s18
	v_add_co_ci_u32_e32 v11, vcc_lo, s19, v16, vcc_lo
	v_cmp_eq_u64_e32 vcc_lo, 0, v[10:11]
	v_cndmask_b32_e32 v11, v11, v16, vcc_lo
	v_cndmask_b32_e32 v10, v10, v6, vcc_lo
	v_and_b32_e32 v3, v11, v3
	v_and_b32_e32 v2, v10, v2
	v_mul_lo_u32 v3, v3, 24
	v_mul_hi_u32 v6, v2, 24
	v_mul_lo_u32 v2, v2, 24
	v_add_nc_u32_e32 v3, v6, v3
	s_waitcnt vmcnt(0)
	v_add_co_u32 v2, vcc_lo, v12, v2
	v_mov_b32_e32 v12, v14
	v_add_co_ci_u32_e32 v3, vcc_lo, v13, v3, vcc_lo
	v_mov_b32_e32 v13, v15
	global_store_dwordx2 v[2:3], v[14:15], off
	s_waitcnt_vscnt null, 0x0
	global_atomic_cmpswap_x2 v[12:13], v7, v[10:13], s[26:27] offset:24 glc
	s_waitcnt vmcnt(0)
	v_cmp_ne_u64_e32 vcc_lo, v[12:13], v[14:15]
	s_and_b32 exec_lo, exec_lo, vcc_lo
	s_cbranch_execz .LBB3_1313
; %bb.1387:                             ;   in Loop: Header=BB3_1314 Depth=1
	s_mov_b32 s4, 0
.LBB3_1388:                             ;   Parent Loop BB3_1314 Depth=1
                                        ; =>  This Inner Loop Header: Depth=2
	s_sleep 1
	global_store_dwordx2 v[2:3], v[12:13], off
	s_waitcnt_vscnt null, 0x0
	global_atomic_cmpswap_x2 v[14:15], v7, v[10:13], s[26:27] offset:24 glc
	s_waitcnt vmcnt(0)
	v_cmp_eq_u64_e32 vcc_lo, v[14:15], v[12:13]
	v_mov_b32_e32 v12, v14
	v_mov_b32_e32 v13, v15
	s_or_b32 s4, vcc_lo, s4
	s_andn2_b32 exec_lo, exec_lo, s4
	s_cbranch_execnz .LBB3_1388
	s_branch .LBB3_1313
.LBB3_1389:
	s_branch .LBB3_1418
.LBB3_1390:
                                        ; implicit-def: $vgpr0_vgpr1
	s_cbranch_execz .LBB3_1418
; %bb.1391:
	v_readfirstlane_b32 s4, v50
	v_mov_b32_e32 v7, 0
	v_mov_b32_e32 v8, 0
	v_cmp_eq_u32_e64 s4, s4, v50
	s_and_saveexec_b32 s5, s4
	s_cbranch_execz .LBB3_1397
; %bb.1392:
	s_waitcnt vmcnt(0)
	v_mov_b32_e32 v0, 0
	s_mov_b32 s6, exec_lo
	global_load_dwordx2 v[9:10], v0, s[26:27] offset:24 glc dlc
	s_waitcnt vmcnt(0)
	buffer_gl1_inv
	buffer_gl0_inv
	s_clause 0x1
	global_load_dwordx2 v[1:2], v0, s[26:27] offset:40
	global_load_dwordx2 v[6:7], v0, s[26:27]
	s_waitcnt vmcnt(1)
	v_and_b32_e32 v2, v2, v10
	v_and_b32_e32 v1, v1, v9
	v_mul_lo_u32 v2, v2, 24
	v_mul_hi_u32 v3, v1, 24
	v_mul_lo_u32 v1, v1, 24
	v_add_nc_u32_e32 v2, v3, v2
	s_waitcnt vmcnt(0)
	v_add_co_u32 v1, vcc_lo, v6, v1
	v_add_co_ci_u32_e32 v2, vcc_lo, v7, v2, vcc_lo
	global_load_dwordx2 v[7:8], v[1:2], off glc dlc
	s_waitcnt vmcnt(0)
	global_atomic_cmpswap_x2 v[7:8], v0, v[7:10], s[26:27] offset:24 glc
	s_waitcnt vmcnt(0)
	buffer_gl1_inv
	buffer_gl0_inv
	v_cmpx_ne_u64_e64 v[7:8], v[9:10]
	s_cbranch_execz .LBB3_1396
; %bb.1393:
	s_mov_b32 s7, 0
	.p2align	6
.LBB3_1394:                             ; =>This Inner Loop Header: Depth=1
	s_sleep 1
	s_clause 0x1
	global_load_dwordx2 v[1:2], v0, s[26:27] offset:40
	global_load_dwordx2 v[11:12], v0, s[26:27]
	v_mov_b32_e32 v10, v8
	v_mov_b32_e32 v9, v7
	s_waitcnt vmcnt(1)
	v_and_b32_e32 v1, v1, v9
	v_and_b32_e32 v2, v2, v10
	s_waitcnt vmcnt(0)
	v_mad_u64_u32 v[6:7], null, v1, 24, v[11:12]
	v_mov_b32_e32 v1, v7
	v_mad_u64_u32 v[1:2], null, v2, 24, v[1:2]
	v_mov_b32_e32 v7, v1
	global_load_dwordx2 v[7:8], v[6:7], off glc dlc
	s_waitcnt vmcnt(0)
	global_atomic_cmpswap_x2 v[7:8], v0, v[7:10], s[26:27] offset:24 glc
	s_waitcnt vmcnt(0)
	buffer_gl1_inv
	buffer_gl0_inv
	v_cmp_eq_u64_e32 vcc_lo, v[7:8], v[9:10]
	s_or_b32 s7, vcc_lo, s7
	s_andn2_b32 exec_lo, exec_lo, s7
	s_cbranch_execnz .LBB3_1394
; %bb.1395:
	s_or_b32 exec_lo, exec_lo, s7
.LBB3_1396:
	s_or_b32 exec_lo, exec_lo, s6
.LBB3_1397:
	s_or_b32 exec_lo, exec_lo, s5
	v_mov_b32_e32 v6, 0
	v_readfirstlane_b32 s6, v7
	v_readfirstlane_b32 s7, v8
	s_mov_b32 s5, exec_lo
	s_clause 0x1
	global_load_dwordx2 v[9:10], v6, s[26:27] offset:40
	global_load_dwordx4 v[0:3], v6, s[26:27]
	s_waitcnt vmcnt(1)
	v_readfirstlane_b32 s10, v9
	v_readfirstlane_b32 s11, v10
	s_and_b64 s[10:11], s[6:7], s[10:11]
	s_mul_i32 s15, s11, 24
	s_mul_hi_u32 s16, s10, 24
	s_mul_i32 s17, s10, 24
	s_add_i32 s16, s16, s15
	s_waitcnt vmcnt(0)
	v_add_co_u32 v8, vcc_lo, v0, s17
	v_add_co_ci_u32_e32 v9, vcc_lo, s16, v1, vcc_lo
	s_and_saveexec_b32 s15, s4
	s_cbranch_execz .LBB3_1399
; %bb.1398:
	v_mov_b32_e32 v10, s5
	v_mov_b32_e32 v11, v6
	;; [unrolled: 1-line block ×4, first 2 shown]
	global_store_dwordx4 v[8:9], v[10:13], off offset:8
.LBB3_1399:
	s_or_b32 exec_lo, exec_lo, s15
	s_lshl_b64 s[10:11], s[10:11], 12
	s_mov_b32 s16, 0
	v_add_co_u32 v2, vcc_lo, v2, s10
	v_add_co_ci_u32_e32 v3, vcc_lo, s11, v3, vcc_lo
	s_mov_b32 s17, s16
	v_add_co_u32 v10, vcc_lo, v2, v39
	s_mov_b32 s18, s16
	s_mov_b32 s19, s16
	v_and_or_b32 v4, 0xffffff1f, v4, 32
	v_mov_b32_e32 v7, v6
	v_readfirstlane_b32 s10, v2
	v_readfirstlane_b32 s11, v3
	v_mov_b32_e32 v12, s16
	v_add_co_ci_u32_e32 v11, vcc_lo, 0, v3, vcc_lo
	v_mov_b32_e32 v13, s17
	v_mov_b32_e32 v14, s18
	;; [unrolled: 1-line block ×3, first 2 shown]
	global_store_dwordx4 v39, v[4:7], s[10:11]
	global_store_dwordx4 v39, v[12:15], s[10:11] offset:16
	global_store_dwordx4 v39, v[12:15], s[10:11] offset:32
	;; [unrolled: 1-line block ×3, first 2 shown]
	s_and_saveexec_b32 s5, s4
	s_cbranch_execz .LBB3_1407
; %bb.1400:
	v_mov_b32_e32 v6, 0
	v_mov_b32_e32 v12, s6
	;; [unrolled: 1-line block ×3, first 2 shown]
	s_clause 0x1
	global_load_dwordx2 v[14:15], v6, s[26:27] offset:32 glc dlc
	global_load_dwordx2 v[2:3], v6, s[26:27] offset:40
	s_waitcnt vmcnt(0)
	v_readfirstlane_b32 s10, v2
	v_readfirstlane_b32 s11, v3
	s_and_b64 s[10:11], s[10:11], s[6:7]
	s_mul_i32 s11, s11, 24
	s_mul_hi_u32 s15, s10, 24
	s_mul_i32 s10, s10, 24
	s_add_i32 s15, s15, s11
	v_add_co_u32 v4, vcc_lo, v0, s10
	v_add_co_ci_u32_e32 v5, vcc_lo, s15, v1, vcc_lo
	s_mov_b32 s10, exec_lo
	global_store_dwordx2 v[4:5], v[14:15], off
	s_waitcnt_vscnt null, 0x0
	global_atomic_cmpswap_x2 v[2:3], v6, v[12:15], s[26:27] offset:32 glc
	s_waitcnt vmcnt(0)
	v_cmpx_ne_u64_e64 v[2:3], v[14:15]
	s_cbranch_execz .LBB3_1403
; %bb.1401:
	s_mov_b32 s11, 0
.LBB3_1402:                             ; =>This Inner Loop Header: Depth=1
	v_mov_b32_e32 v0, s6
	v_mov_b32_e32 v1, s7
	s_sleep 1
	global_store_dwordx2 v[4:5], v[2:3], off
	s_waitcnt_vscnt null, 0x0
	global_atomic_cmpswap_x2 v[0:1], v6, v[0:3], s[26:27] offset:32 glc
	s_waitcnt vmcnt(0)
	v_cmp_eq_u64_e32 vcc_lo, v[0:1], v[2:3]
	v_mov_b32_e32 v3, v1
	v_mov_b32_e32 v2, v0
	s_or_b32 s11, vcc_lo, s11
	s_andn2_b32 exec_lo, exec_lo, s11
	s_cbranch_execnz .LBB3_1402
.LBB3_1403:
	s_or_b32 exec_lo, exec_lo, s10
	v_mov_b32_e32 v3, 0
	s_mov_b32 s11, exec_lo
	s_mov_b32 s10, exec_lo
	v_mbcnt_lo_u32_b32 v2, s11, 0
	global_load_dwordx2 v[0:1], v3, s[26:27] offset:16
	v_cmpx_eq_u32_e32 0, v2
	s_cbranch_execz .LBB3_1405
; %bb.1404:
	s_bcnt1_i32_b32 s11, s11
	v_mov_b32_e32 v2, s11
	s_waitcnt vmcnt(0)
	global_atomic_add_x2 v[0:1], v[2:3], off offset:8
.LBB3_1405:
	s_or_b32 exec_lo, exec_lo, s10
	s_waitcnt vmcnt(0)
	global_load_dwordx2 v[2:3], v[0:1], off offset:16
	s_waitcnt vmcnt(0)
	v_cmp_eq_u64_e32 vcc_lo, 0, v[2:3]
	s_cbranch_vccnz .LBB3_1407
; %bb.1406:
	global_load_dword v0, v[0:1], off offset:24
	v_mov_b32_e32 v1, 0
	s_waitcnt vmcnt(0)
	v_and_b32_e32 v4, 0x7fffff, v0
	s_waitcnt_vscnt null, 0x0
	global_store_dwordx2 v[2:3], v[0:1], off
	v_readfirstlane_b32 m0, v4
	s_sendmsg sendmsg(MSG_INTERRUPT)
.LBB3_1407:
	s_or_b32 exec_lo, exec_lo, s5
	s_branch .LBB3_1411
	.p2align	6
.LBB3_1408:                             ;   in Loop: Header=BB3_1411 Depth=1
	s_or_b32 exec_lo, exec_lo, s5
	v_readfirstlane_b32 s5, v0
	s_cmp_eq_u32 s5, 0
	s_cbranch_scc1 .LBB3_1410
; %bb.1409:                             ;   in Loop: Header=BB3_1411 Depth=1
	s_sleep 1
	s_cbranch_execnz .LBB3_1411
	s_branch .LBB3_1413
	.p2align	6
.LBB3_1410:
	s_branch .LBB3_1413
.LBB3_1411:                             ; =>This Inner Loop Header: Depth=1
	v_mov_b32_e32 v0, 1
	s_and_saveexec_b32 s5, s4
	s_cbranch_execz .LBB3_1408
; %bb.1412:                             ;   in Loop: Header=BB3_1411 Depth=1
	global_load_dword v0, v[8:9], off offset:20 glc dlc
	s_waitcnt vmcnt(0)
	buffer_gl1_inv
	buffer_gl0_inv
	v_and_b32_e32 v0, 1, v0
	s_branch .LBB3_1408
.LBB3_1413:
	global_load_dwordx2 v[0:1], v[10:11], off
	s_and_saveexec_b32 s5, s4
	s_cbranch_execz .LBB3_1417
; %bb.1414:
	v_mov_b32_e32 v8, 0
	s_clause 0x2
	global_load_dwordx2 v[4:5], v8, s[26:27] offset:40
	global_load_dwordx2 v[9:10], v8, s[26:27] offset:24 glc dlc
	global_load_dwordx2 v[6:7], v8, s[26:27]
	s_waitcnt vmcnt(2)
	v_add_co_u32 v11, vcc_lo, v4, 1
	v_add_co_ci_u32_e32 v12, vcc_lo, 0, v5, vcc_lo
	v_add_co_u32 v2, vcc_lo, v11, s6
	v_add_co_ci_u32_e32 v3, vcc_lo, s7, v12, vcc_lo
	v_cmp_eq_u64_e32 vcc_lo, 0, v[2:3]
	v_cndmask_b32_e32 v3, v3, v12, vcc_lo
	v_cndmask_b32_e32 v2, v2, v11, vcc_lo
	v_and_b32_e32 v5, v3, v5
	v_and_b32_e32 v4, v2, v4
	v_mul_lo_u32 v5, v5, 24
	v_mul_hi_u32 v11, v4, 24
	v_mul_lo_u32 v4, v4, 24
	v_add_nc_u32_e32 v5, v11, v5
	s_waitcnt vmcnt(0)
	v_add_co_u32 v6, vcc_lo, v6, v4
	v_mov_b32_e32 v4, v9
	v_add_co_ci_u32_e32 v7, vcc_lo, v7, v5, vcc_lo
	v_mov_b32_e32 v5, v10
	global_store_dwordx2 v[6:7], v[9:10], off
	s_waitcnt_vscnt null, 0x0
	global_atomic_cmpswap_x2 v[4:5], v8, v[2:5], s[26:27] offset:24 glc
	s_waitcnt vmcnt(0)
	v_cmp_ne_u64_e32 vcc_lo, v[4:5], v[9:10]
	s_and_b32 exec_lo, exec_lo, vcc_lo
	s_cbranch_execz .LBB3_1417
; %bb.1415:
	s_mov_b32 s4, 0
.LBB3_1416:                             ; =>This Inner Loop Header: Depth=1
	s_sleep 1
	global_store_dwordx2 v[6:7], v[4:5], off
	s_waitcnt_vscnt null, 0x0
	global_atomic_cmpswap_x2 v[9:10], v8, v[2:5], s[26:27] offset:24 glc
	s_waitcnt vmcnt(0)
	v_cmp_eq_u64_e32 vcc_lo, v[9:10], v[4:5]
	v_mov_b32_e32 v4, v9
	v_mov_b32_e32 v5, v10
	s_or_b32 s4, vcc_lo, s4
	s_andn2_b32 exec_lo, exec_lo, s4
	s_cbranch_execnz .LBB3_1416
.LBB3_1417:
	s_or_b32 exec_lo, exec_lo, s5
.LBB3_1418:
	s_getpc_b64 s[6:7]
	s_add_u32 s6, s6, .str.2@rel32@lo+4
	s_addc_u32 s7, s7, .str.2@rel32@hi+12
	s_cmp_lg_u64 s[6:7], 0
	s_cbranch_scc0 .LBB3_1497
; %bb.1419:
	s_waitcnt vmcnt(0)
	v_and_b32_e32 v6, -3, v0
	v_mov_b32_e32 v7, v1
	v_mov_b32_e32 v3, 0
	v_mov_b32_e32 v4, 2
	v_mov_b32_e32 v5, 1
	s_mov_b64 s[10:11], 13
	s_branch .LBB3_1421
.LBB3_1420:                             ;   in Loop: Header=BB3_1421 Depth=1
	s_or_b32 exec_lo, exec_lo, s5
	s_sub_u32 s10, s10, s16
	s_subb_u32 s11, s11, s17
	s_add_u32 s6, s6, s16
	s_addc_u32 s7, s7, s17
	s_cmp_lg_u64 s[10:11], 0
	s_cbranch_scc0 .LBB3_1496
.LBB3_1421:                             ; =>This Loop Header: Depth=1
                                        ;     Child Loop BB3_1430 Depth 2
                                        ;     Child Loop BB3_1426 Depth 2
	;; [unrolled: 1-line block ×11, first 2 shown]
	v_cmp_lt_u64_e64 s4, s[10:11], 56
	v_cmp_gt_u64_e64 s5, s[10:11], 7
                                        ; implicit-def: $sgpr15
	s_and_b32 s4, s4, exec_lo
	s_cselect_b32 s17, s11, 0
	s_cselect_b32 s16, s10, 56
	s_and_b32 vcc_lo, exec_lo, s5
	s_mov_b32 s4, -1
	s_cbranch_vccz .LBB3_1428
; %bb.1422:                             ;   in Loop: Header=BB3_1421 Depth=1
	s_andn2_b32 vcc_lo, exec_lo, s4
	s_mov_b64 s[4:5], s[6:7]
	s_cbranch_vccz .LBB3_1432
.LBB3_1423:                             ;   in Loop: Header=BB3_1421 Depth=1
	s_cmp_gt_u32 s15, 7
	s_cbranch_scc1 .LBB3_1433
.LBB3_1424:                             ;   in Loop: Header=BB3_1421 Depth=1
	v_mov_b32_e32 v10, 0
	v_mov_b32_e32 v11, 0
	s_cmp_eq_u32 s15, 0
	s_cbranch_scc1 .LBB3_1427
; %bb.1425:                             ;   in Loop: Header=BB3_1421 Depth=1
	s_mov_b64 s[18:19], 0
	s_mov_b64 s[20:21], 0
.LBB3_1426:                             ;   Parent Loop BB3_1421 Depth=1
                                        ; =>  This Inner Loop Header: Depth=2
	s_add_u32 s22, s4, s20
	s_addc_u32 s23, s5, s21
	s_add_u32 s20, s20, 1
	global_load_ubyte v2, v3, s[22:23]
	s_addc_u32 s21, s21, 0
	s_waitcnt vmcnt(0)
	v_and_b32_e32 v2, 0xffff, v2
	v_lshlrev_b64 v[12:13], s18, v[2:3]
	s_add_u32 s18, s18, 8
	s_addc_u32 s19, s19, 0
	s_cmp_lg_u32 s15, s20
	v_or_b32_e32 v10, v12, v10
	v_or_b32_e32 v11, v13, v11
	s_cbranch_scc1 .LBB3_1426
.LBB3_1427:                             ;   in Loop: Header=BB3_1421 Depth=1
	s_mov_b32 s22, 0
	s_cbranch_execz .LBB3_1434
	s_branch .LBB3_1435
.LBB3_1428:                             ;   in Loop: Header=BB3_1421 Depth=1
	s_waitcnt vmcnt(0)
	v_mov_b32_e32 v8, 0
	v_mov_b32_e32 v9, 0
	s_cmp_eq_u64 s[10:11], 0
	s_mov_b64 s[4:5], 0
	s_cbranch_scc1 .LBB3_1431
; %bb.1429:                             ;   in Loop: Header=BB3_1421 Depth=1
	v_mov_b32_e32 v8, 0
	v_mov_b32_e32 v9, 0
	s_lshl_b64 s[18:19], s[16:17], 3
	s_mov_b64 s[20:21], s[6:7]
.LBB3_1430:                             ;   Parent Loop BB3_1421 Depth=1
                                        ; =>  This Inner Loop Header: Depth=2
	global_load_ubyte v2, v3, s[20:21]
	s_waitcnt vmcnt(0)
	v_and_b32_e32 v2, 0xffff, v2
	v_lshlrev_b64 v[10:11], s4, v[2:3]
	s_add_u32 s4, s4, 8
	s_addc_u32 s5, s5, 0
	s_add_u32 s20, s20, 1
	s_addc_u32 s21, s21, 0
	s_cmp_lg_u32 s18, s4
	v_or_b32_e32 v8, v10, v8
	v_or_b32_e32 v9, v11, v9
	s_cbranch_scc1 .LBB3_1430
.LBB3_1431:                             ;   in Loop: Header=BB3_1421 Depth=1
	s_mov_b32 s15, 0
	s_mov_b64 s[4:5], s[6:7]
	s_cbranch_execnz .LBB3_1423
.LBB3_1432:                             ;   in Loop: Header=BB3_1421 Depth=1
	global_load_dwordx2 v[8:9], v3, s[6:7]
	s_add_i32 s15, s16, -8
	s_add_u32 s4, s6, 8
	s_addc_u32 s5, s7, 0
	s_cmp_gt_u32 s15, 7
	s_cbranch_scc0 .LBB3_1424
.LBB3_1433:                             ;   in Loop: Header=BB3_1421 Depth=1
                                        ; implicit-def: $vgpr10_vgpr11
                                        ; implicit-def: $sgpr22
.LBB3_1434:                             ;   in Loop: Header=BB3_1421 Depth=1
	global_load_dwordx2 v[10:11], v3, s[4:5]
	s_add_i32 s22, s15, -8
	s_add_u32 s4, s4, 8
	s_addc_u32 s5, s5, 0
.LBB3_1435:                             ;   in Loop: Header=BB3_1421 Depth=1
	s_cmp_gt_u32 s22, 7
	s_cbranch_scc1 .LBB3_1440
; %bb.1436:                             ;   in Loop: Header=BB3_1421 Depth=1
	v_mov_b32_e32 v12, 0
	v_mov_b32_e32 v13, 0
	s_cmp_eq_u32 s22, 0
	s_cbranch_scc1 .LBB3_1439
; %bb.1437:                             ;   in Loop: Header=BB3_1421 Depth=1
	s_mov_b64 s[18:19], 0
	s_mov_b64 s[20:21], 0
.LBB3_1438:                             ;   Parent Loop BB3_1421 Depth=1
                                        ; =>  This Inner Loop Header: Depth=2
	s_add_u32 s24, s4, s20
	s_addc_u32 s25, s5, s21
	s_add_u32 s20, s20, 1
	global_load_ubyte v2, v3, s[24:25]
	s_addc_u32 s21, s21, 0
	s_waitcnt vmcnt(0)
	v_and_b32_e32 v2, 0xffff, v2
	v_lshlrev_b64 v[14:15], s18, v[2:3]
	s_add_u32 s18, s18, 8
	s_addc_u32 s19, s19, 0
	s_cmp_lg_u32 s22, s20
	v_or_b32_e32 v12, v14, v12
	v_or_b32_e32 v13, v15, v13
	s_cbranch_scc1 .LBB3_1438
.LBB3_1439:                             ;   in Loop: Header=BB3_1421 Depth=1
	s_mov_b32 s15, 0
	s_cbranch_execz .LBB3_1441
	s_branch .LBB3_1442
.LBB3_1440:                             ;   in Loop: Header=BB3_1421 Depth=1
                                        ; implicit-def: $sgpr15
.LBB3_1441:                             ;   in Loop: Header=BB3_1421 Depth=1
	global_load_dwordx2 v[12:13], v3, s[4:5]
	s_add_i32 s15, s22, -8
	s_add_u32 s4, s4, 8
	s_addc_u32 s5, s5, 0
.LBB3_1442:                             ;   in Loop: Header=BB3_1421 Depth=1
	s_cmp_gt_u32 s15, 7
	s_cbranch_scc1 .LBB3_1447
; %bb.1443:                             ;   in Loop: Header=BB3_1421 Depth=1
	v_mov_b32_e32 v14, 0
	v_mov_b32_e32 v15, 0
	s_cmp_eq_u32 s15, 0
	s_cbranch_scc1 .LBB3_1446
; %bb.1444:                             ;   in Loop: Header=BB3_1421 Depth=1
	s_mov_b64 s[18:19], 0
	s_mov_b64 s[20:21], 0
.LBB3_1445:                             ;   Parent Loop BB3_1421 Depth=1
                                        ; =>  This Inner Loop Header: Depth=2
	s_add_u32 s22, s4, s20
	s_addc_u32 s23, s5, s21
	s_add_u32 s20, s20, 1
	global_load_ubyte v2, v3, s[22:23]
	s_addc_u32 s21, s21, 0
	s_waitcnt vmcnt(0)
	v_and_b32_e32 v2, 0xffff, v2
	v_lshlrev_b64 v[16:17], s18, v[2:3]
	s_add_u32 s18, s18, 8
	s_addc_u32 s19, s19, 0
	s_cmp_lg_u32 s15, s20
	v_or_b32_e32 v14, v16, v14
	v_or_b32_e32 v15, v17, v15
	s_cbranch_scc1 .LBB3_1445
.LBB3_1446:                             ;   in Loop: Header=BB3_1421 Depth=1
	s_mov_b32 s22, 0
	s_cbranch_execz .LBB3_1448
	s_branch .LBB3_1449
.LBB3_1447:                             ;   in Loop: Header=BB3_1421 Depth=1
                                        ; implicit-def: $vgpr14_vgpr15
                                        ; implicit-def: $sgpr22
.LBB3_1448:                             ;   in Loop: Header=BB3_1421 Depth=1
	global_load_dwordx2 v[14:15], v3, s[4:5]
	s_add_i32 s22, s15, -8
	s_add_u32 s4, s4, 8
	s_addc_u32 s5, s5, 0
.LBB3_1449:                             ;   in Loop: Header=BB3_1421 Depth=1
	s_cmp_gt_u32 s22, 7
	s_cbranch_scc1 .LBB3_1454
; %bb.1450:                             ;   in Loop: Header=BB3_1421 Depth=1
	v_mov_b32_e32 v16, 0
	v_mov_b32_e32 v17, 0
	s_cmp_eq_u32 s22, 0
	s_cbranch_scc1 .LBB3_1453
; %bb.1451:                             ;   in Loop: Header=BB3_1421 Depth=1
	s_mov_b64 s[18:19], 0
	s_mov_b64 s[20:21], 0
.LBB3_1452:                             ;   Parent Loop BB3_1421 Depth=1
                                        ; =>  This Inner Loop Header: Depth=2
	s_add_u32 s24, s4, s20
	s_addc_u32 s25, s5, s21
	s_add_u32 s20, s20, 1
	global_load_ubyte v2, v3, s[24:25]
	s_addc_u32 s21, s21, 0
	s_waitcnt vmcnt(0)
	v_and_b32_e32 v2, 0xffff, v2
	v_lshlrev_b64 v[18:19], s18, v[2:3]
	s_add_u32 s18, s18, 8
	s_addc_u32 s19, s19, 0
	s_cmp_lg_u32 s22, s20
	v_or_b32_e32 v16, v18, v16
	v_or_b32_e32 v17, v19, v17
	s_cbranch_scc1 .LBB3_1452
.LBB3_1453:                             ;   in Loop: Header=BB3_1421 Depth=1
	s_mov_b32 s15, 0
	s_cbranch_execz .LBB3_1455
	s_branch .LBB3_1456
.LBB3_1454:                             ;   in Loop: Header=BB3_1421 Depth=1
                                        ; implicit-def: $sgpr15
.LBB3_1455:                             ;   in Loop: Header=BB3_1421 Depth=1
	global_load_dwordx2 v[16:17], v3, s[4:5]
	s_add_i32 s15, s22, -8
	s_add_u32 s4, s4, 8
	s_addc_u32 s5, s5, 0
.LBB3_1456:                             ;   in Loop: Header=BB3_1421 Depth=1
	s_cmp_gt_u32 s15, 7
	s_cbranch_scc1 .LBB3_1461
; %bb.1457:                             ;   in Loop: Header=BB3_1421 Depth=1
	v_mov_b32_e32 v18, 0
	v_mov_b32_e32 v19, 0
	s_cmp_eq_u32 s15, 0
	s_cbranch_scc1 .LBB3_1460
; %bb.1458:                             ;   in Loop: Header=BB3_1421 Depth=1
	s_mov_b64 s[18:19], 0
	s_mov_b64 s[20:21], 0
.LBB3_1459:                             ;   Parent Loop BB3_1421 Depth=1
                                        ; =>  This Inner Loop Header: Depth=2
	s_add_u32 s22, s4, s20
	s_addc_u32 s23, s5, s21
	s_add_u32 s20, s20, 1
	global_load_ubyte v2, v3, s[22:23]
	s_addc_u32 s21, s21, 0
	s_waitcnt vmcnt(0)
	v_and_b32_e32 v2, 0xffff, v2
	v_lshlrev_b64 v[20:21], s18, v[2:3]
	s_add_u32 s18, s18, 8
	s_addc_u32 s19, s19, 0
	s_cmp_lg_u32 s15, s20
	v_or_b32_e32 v18, v20, v18
	v_or_b32_e32 v19, v21, v19
	s_cbranch_scc1 .LBB3_1459
.LBB3_1460:                             ;   in Loop: Header=BB3_1421 Depth=1
	s_mov_b32 s22, 0
	s_cbranch_execz .LBB3_1462
	s_branch .LBB3_1463
.LBB3_1461:                             ;   in Loop: Header=BB3_1421 Depth=1
                                        ; implicit-def: $vgpr18_vgpr19
                                        ; implicit-def: $sgpr22
.LBB3_1462:                             ;   in Loop: Header=BB3_1421 Depth=1
	global_load_dwordx2 v[18:19], v3, s[4:5]
	s_add_i32 s22, s15, -8
	s_add_u32 s4, s4, 8
	s_addc_u32 s5, s5, 0
.LBB3_1463:                             ;   in Loop: Header=BB3_1421 Depth=1
	s_cmp_gt_u32 s22, 7
	s_cbranch_scc1 .LBB3_1468
; %bb.1464:                             ;   in Loop: Header=BB3_1421 Depth=1
	v_mov_b32_e32 v20, 0
	v_mov_b32_e32 v21, 0
	s_cmp_eq_u32 s22, 0
	s_cbranch_scc1 .LBB3_1467
; %bb.1465:                             ;   in Loop: Header=BB3_1421 Depth=1
	s_mov_b64 s[18:19], 0
	s_mov_b64 s[20:21], s[4:5]
.LBB3_1466:                             ;   Parent Loop BB3_1421 Depth=1
                                        ; =>  This Inner Loop Header: Depth=2
	global_load_ubyte v2, v3, s[20:21]
	s_add_i32 s22, s22, -1
	s_waitcnt vmcnt(0)
	v_and_b32_e32 v2, 0xffff, v2
	v_lshlrev_b64 v[22:23], s18, v[2:3]
	s_add_u32 s18, s18, 8
	s_addc_u32 s19, s19, 0
	s_add_u32 s20, s20, 1
	s_addc_u32 s21, s21, 0
	s_cmp_lg_u32 s22, 0
	v_or_b32_e32 v20, v22, v20
	v_or_b32_e32 v21, v23, v21
	s_cbranch_scc1 .LBB3_1466
.LBB3_1467:                             ;   in Loop: Header=BB3_1421 Depth=1
	s_cbranch_execz .LBB3_1469
	s_branch .LBB3_1470
.LBB3_1468:                             ;   in Loop: Header=BB3_1421 Depth=1
.LBB3_1469:                             ;   in Loop: Header=BB3_1421 Depth=1
	global_load_dwordx2 v[20:21], v3, s[4:5]
.LBB3_1470:                             ;   in Loop: Header=BB3_1421 Depth=1
	v_readfirstlane_b32 s4, v50
	v_mov_b32_e32 v26, 0
	v_mov_b32_e32 v27, 0
	v_cmp_eq_u32_e64 s4, s4, v50
	s_and_saveexec_b32 s5, s4
	s_cbranch_execz .LBB3_1476
; %bb.1471:                             ;   in Loop: Header=BB3_1421 Depth=1
	global_load_dwordx2 v[24:25], v3, s[26:27] offset:24 glc dlc
	s_waitcnt vmcnt(0)
	buffer_gl1_inv
	buffer_gl0_inv
	s_clause 0x1
	global_load_dwordx2 v[22:23], v3, s[26:27] offset:40
	global_load_dwordx2 v[26:27], v3, s[26:27]
	s_mov_b32 s15, exec_lo
	s_waitcnt vmcnt(1)
	v_and_b32_e32 v2, v23, v25
	v_and_b32_e32 v22, v22, v24
	v_mul_lo_u32 v2, v2, 24
	v_mul_hi_u32 v23, v22, 24
	v_mul_lo_u32 v22, v22, 24
	v_add_nc_u32_e32 v2, v23, v2
	s_waitcnt vmcnt(0)
	v_add_co_u32 v22, vcc_lo, v26, v22
	v_add_co_ci_u32_e32 v23, vcc_lo, v27, v2, vcc_lo
	global_load_dwordx2 v[22:23], v[22:23], off glc dlc
	s_waitcnt vmcnt(0)
	global_atomic_cmpswap_x2 v[26:27], v3, v[22:25], s[26:27] offset:24 glc
	s_waitcnt vmcnt(0)
	buffer_gl1_inv
	buffer_gl0_inv
	v_cmpx_ne_u64_e64 v[26:27], v[24:25]
	s_cbranch_execz .LBB3_1475
; %bb.1472:                             ;   in Loop: Header=BB3_1421 Depth=1
	s_mov_b32 s18, 0
	.p2align	6
.LBB3_1473:                             ;   Parent Loop BB3_1421 Depth=1
                                        ; =>  This Inner Loop Header: Depth=2
	s_sleep 1
	s_clause 0x1
	global_load_dwordx2 v[22:23], v3, s[26:27] offset:40
	global_load_dwordx2 v[28:29], v3, s[26:27]
	v_mov_b32_e32 v24, v26
	v_mov_b32_e32 v25, v27
	s_waitcnt vmcnt(1)
	v_and_b32_e32 v2, v22, v24
	v_and_b32_e32 v22, v23, v25
	s_waitcnt vmcnt(0)
	v_mad_u64_u32 v[26:27], null, v2, 24, v[28:29]
	v_mov_b32_e32 v2, v27
	v_mad_u64_u32 v[22:23], null, v22, 24, v[2:3]
	v_mov_b32_e32 v27, v22
	global_load_dwordx2 v[22:23], v[26:27], off glc dlc
	s_waitcnt vmcnt(0)
	global_atomic_cmpswap_x2 v[26:27], v3, v[22:25], s[26:27] offset:24 glc
	s_waitcnt vmcnt(0)
	buffer_gl1_inv
	buffer_gl0_inv
	v_cmp_eq_u64_e32 vcc_lo, v[26:27], v[24:25]
	s_or_b32 s18, vcc_lo, s18
	s_andn2_b32 exec_lo, exec_lo, s18
	s_cbranch_execnz .LBB3_1473
; %bb.1474:                             ;   in Loop: Header=BB3_1421 Depth=1
	s_or_b32 exec_lo, exec_lo, s18
.LBB3_1475:                             ;   in Loop: Header=BB3_1421 Depth=1
	s_or_b32 exec_lo, exec_lo, s15
.LBB3_1476:                             ;   in Loop: Header=BB3_1421 Depth=1
	s_or_b32 exec_lo, exec_lo, s5
	s_clause 0x1
	global_load_dwordx2 v[28:29], v3, s[26:27] offset:40
	global_load_dwordx4 v[22:25], v3, s[26:27]
	v_readfirstlane_b32 s18, v26
	v_readfirstlane_b32 s19, v27
	s_mov_b32 s5, exec_lo
	s_waitcnt vmcnt(1)
	v_readfirstlane_b32 s20, v28
	v_readfirstlane_b32 s21, v29
	s_and_b64 s[20:21], s[18:19], s[20:21]
	s_mul_i32 s15, s21, 24
	s_mul_hi_u32 s22, s20, 24
	s_mul_i32 s23, s20, 24
	s_add_i32 s22, s22, s15
	s_waitcnt vmcnt(0)
	v_add_co_u32 v26, vcc_lo, v22, s23
	v_add_co_ci_u32_e32 v27, vcc_lo, s22, v23, vcc_lo
	s_and_saveexec_b32 s15, s4
	s_cbranch_execz .LBB3_1478
; %bb.1477:                             ;   in Loop: Header=BB3_1421 Depth=1
	v_mov_b32_e32 v2, s5
	global_store_dwordx4 v[26:27], v[2:5], off offset:8
.LBB3_1478:                             ;   in Loop: Header=BB3_1421 Depth=1
	s_or_b32 exec_lo, exec_lo, s15
	s_lshl_b64 s[20:21], s[20:21], 12
	v_or_b32_e32 v2, 2, v6
	v_add_co_u32 v24, vcc_lo, v24, s20
	v_add_co_ci_u32_e32 v25, vcc_lo, s21, v25, vcc_lo
	v_cmp_gt_u64_e64 vcc_lo, s[10:11], 56
	s_lshl_b32 s5, s16, 2
	v_readfirstlane_b32 s20, v24
	s_add_i32 s5, s5, 28
	v_readfirstlane_b32 s21, v25
	s_and_b32 s5, s5, 0x1e0
	v_cndmask_b32_e32 v2, v2, v6, vcc_lo
	v_and_or_b32 v6, 0xffffff1f, v2, s5
	global_store_dwordx4 v39, v[10:13], s[20:21] offset:16
	global_store_dwordx4 v39, v[6:9], s[20:21]
	global_store_dwordx4 v39, v[14:17], s[20:21] offset:32
	global_store_dwordx4 v39, v[18:21], s[20:21] offset:48
	s_and_saveexec_b32 s5, s4
	s_cbranch_execz .LBB3_1486
; %bb.1479:                             ;   in Loop: Header=BB3_1421 Depth=1
	s_clause 0x1
	global_load_dwordx2 v[14:15], v3, s[26:27] offset:32 glc dlc
	global_load_dwordx2 v[6:7], v3, s[26:27] offset:40
	v_mov_b32_e32 v12, s18
	v_mov_b32_e32 v13, s19
	s_waitcnt vmcnt(0)
	v_readfirstlane_b32 s20, v6
	v_readfirstlane_b32 s21, v7
	s_and_b64 s[20:21], s[20:21], s[18:19]
	s_mul_i32 s15, s21, 24
	s_mul_hi_u32 s21, s20, 24
	s_mul_i32 s20, s20, 24
	s_add_i32 s21, s21, s15
	v_add_co_u32 v10, vcc_lo, v22, s20
	v_add_co_ci_u32_e32 v11, vcc_lo, s21, v23, vcc_lo
	s_mov_b32 s15, exec_lo
	global_store_dwordx2 v[10:11], v[14:15], off
	s_waitcnt_vscnt null, 0x0
	global_atomic_cmpswap_x2 v[8:9], v3, v[12:15], s[26:27] offset:32 glc
	s_waitcnt vmcnt(0)
	v_cmpx_ne_u64_e64 v[8:9], v[14:15]
	s_cbranch_execz .LBB3_1482
; %bb.1480:                             ;   in Loop: Header=BB3_1421 Depth=1
	s_mov_b32 s20, 0
.LBB3_1481:                             ;   Parent Loop BB3_1421 Depth=1
                                        ; =>  This Inner Loop Header: Depth=2
	v_mov_b32_e32 v6, s18
	v_mov_b32_e32 v7, s19
	s_sleep 1
	global_store_dwordx2 v[10:11], v[8:9], off
	s_waitcnt_vscnt null, 0x0
	global_atomic_cmpswap_x2 v[6:7], v3, v[6:9], s[26:27] offset:32 glc
	s_waitcnt vmcnt(0)
	v_cmp_eq_u64_e32 vcc_lo, v[6:7], v[8:9]
	v_mov_b32_e32 v9, v7
	v_mov_b32_e32 v8, v6
	s_or_b32 s20, vcc_lo, s20
	s_andn2_b32 exec_lo, exec_lo, s20
	s_cbranch_execnz .LBB3_1481
.LBB3_1482:                             ;   in Loop: Header=BB3_1421 Depth=1
	s_or_b32 exec_lo, exec_lo, s15
	global_load_dwordx2 v[6:7], v3, s[26:27] offset:16
	s_mov_b32 s20, exec_lo
	s_mov_b32 s15, exec_lo
	v_mbcnt_lo_u32_b32 v2, s20, 0
	v_cmpx_eq_u32_e32 0, v2
	s_cbranch_execz .LBB3_1484
; %bb.1483:                             ;   in Loop: Header=BB3_1421 Depth=1
	s_bcnt1_i32_b32 s20, s20
	v_mov_b32_e32 v2, s20
	s_waitcnt vmcnt(0)
	global_atomic_add_x2 v[6:7], v[2:3], off offset:8
.LBB3_1484:                             ;   in Loop: Header=BB3_1421 Depth=1
	s_or_b32 exec_lo, exec_lo, s15
	s_waitcnt vmcnt(0)
	global_load_dwordx2 v[8:9], v[6:7], off offset:16
	s_waitcnt vmcnt(0)
	v_cmp_eq_u64_e32 vcc_lo, 0, v[8:9]
	s_cbranch_vccnz .LBB3_1486
; %bb.1485:                             ;   in Loop: Header=BB3_1421 Depth=1
	global_load_dword v2, v[6:7], off offset:24
	s_waitcnt vmcnt(0)
	v_and_b32_e32 v6, 0x7fffff, v2
	s_waitcnt_vscnt null, 0x0
	global_store_dwordx2 v[8:9], v[2:3], off
	v_readfirstlane_b32 m0, v6
	s_sendmsg sendmsg(MSG_INTERRUPT)
.LBB3_1486:                             ;   in Loop: Header=BB3_1421 Depth=1
	s_or_b32 exec_lo, exec_lo, s5
	v_add_co_u32 v6, vcc_lo, v24, v39
	v_add_co_ci_u32_e32 v7, vcc_lo, 0, v25, vcc_lo
	s_branch .LBB3_1490
	.p2align	6
.LBB3_1487:                             ;   in Loop: Header=BB3_1490 Depth=2
	s_or_b32 exec_lo, exec_lo, s5
	v_readfirstlane_b32 s5, v2
	s_cmp_eq_u32 s5, 0
	s_cbranch_scc1 .LBB3_1489
; %bb.1488:                             ;   in Loop: Header=BB3_1490 Depth=2
	s_sleep 1
	s_cbranch_execnz .LBB3_1490
	s_branch .LBB3_1492
	.p2align	6
.LBB3_1489:                             ;   in Loop: Header=BB3_1421 Depth=1
	s_branch .LBB3_1492
.LBB3_1490:                             ;   Parent Loop BB3_1421 Depth=1
                                        ; =>  This Inner Loop Header: Depth=2
	v_mov_b32_e32 v2, 1
	s_and_saveexec_b32 s5, s4
	s_cbranch_execz .LBB3_1487
; %bb.1491:                             ;   in Loop: Header=BB3_1490 Depth=2
	global_load_dword v2, v[26:27], off offset:20 glc dlc
	s_waitcnt vmcnt(0)
	buffer_gl1_inv
	buffer_gl0_inv
	v_and_b32_e32 v2, 1, v2
	s_branch .LBB3_1487
.LBB3_1492:                             ;   in Loop: Header=BB3_1421 Depth=1
	global_load_dwordx4 v[6:9], v[6:7], off
	s_and_saveexec_b32 s5, s4
	s_cbranch_execz .LBB3_1420
; %bb.1493:                             ;   in Loop: Header=BB3_1421 Depth=1
	s_clause 0x2
	global_load_dwordx2 v[10:11], v3, s[26:27] offset:40
	global_load_dwordx2 v[14:15], v3, s[26:27] offset:24 glc dlc
	global_load_dwordx2 v[12:13], v3, s[26:27]
	s_waitcnt vmcnt(2)
	v_add_co_u32 v2, vcc_lo, v10, 1
	v_add_co_ci_u32_e32 v16, vcc_lo, 0, v11, vcc_lo
	v_add_co_u32 v8, vcc_lo, v2, s18
	v_add_co_ci_u32_e32 v9, vcc_lo, s19, v16, vcc_lo
	v_cmp_eq_u64_e32 vcc_lo, 0, v[8:9]
	v_cndmask_b32_e32 v9, v9, v16, vcc_lo
	v_cndmask_b32_e32 v8, v8, v2, vcc_lo
	v_and_b32_e32 v2, v9, v11
	v_and_b32_e32 v10, v8, v10
	v_mul_lo_u32 v2, v2, 24
	v_mul_hi_u32 v11, v10, 24
	v_mul_lo_u32 v10, v10, 24
	v_add_nc_u32_e32 v2, v11, v2
	s_waitcnt vmcnt(0)
	v_add_co_u32 v12, vcc_lo, v12, v10
	v_mov_b32_e32 v10, v14
	v_mov_b32_e32 v11, v15
	v_add_co_ci_u32_e32 v13, vcc_lo, v13, v2, vcc_lo
	global_store_dwordx2 v[12:13], v[14:15], off
	s_waitcnt_vscnt null, 0x0
	global_atomic_cmpswap_x2 v[10:11], v3, v[8:11], s[26:27] offset:24 glc
	s_waitcnt vmcnt(0)
	v_cmp_ne_u64_e32 vcc_lo, v[10:11], v[14:15]
	s_and_b32 exec_lo, exec_lo, vcc_lo
	s_cbranch_execz .LBB3_1420
; %bb.1494:                             ;   in Loop: Header=BB3_1421 Depth=1
	s_mov_b32 s4, 0
.LBB3_1495:                             ;   Parent Loop BB3_1421 Depth=1
                                        ; =>  This Inner Loop Header: Depth=2
	s_sleep 1
	global_store_dwordx2 v[12:13], v[10:11], off
	s_waitcnt_vscnt null, 0x0
	global_atomic_cmpswap_x2 v[14:15], v3, v[8:11], s[26:27] offset:24 glc
	s_waitcnt vmcnt(0)
	v_cmp_eq_u64_e32 vcc_lo, v[14:15], v[10:11]
	v_mov_b32_e32 v10, v14
	v_mov_b32_e32 v11, v15
	s_or_b32 s4, vcc_lo, s4
	s_andn2_b32 exec_lo, exec_lo, s4
	s_cbranch_execnz .LBB3_1495
	s_branch .LBB3_1420
.LBB3_1496:
	s_mov_b32 s4, 0
	s_branch .LBB3_1498
.LBB3_1497:
	s_mov_b32 s4, -1
.LBB3_1498:
	s_mov_b32 s36, s12
	s_mov_b32 s37, s13
	;; [unrolled: 1-line block ×3, first 2 shown]
	s_and_b32 vcc_lo, exec_lo, s4
	s_cbranch_vccz .LBB3_1526
; %bb.1499:
	v_readfirstlane_b32 s4, v50
	s_waitcnt vmcnt(0)
	v_mov_b32_e32 v8, 0
	v_mov_b32_e32 v9, 0
	v_cmp_eq_u32_e64 s4, s4, v50
	s_and_saveexec_b32 s5, s4
	s_cbranch_execz .LBB3_1505
; %bb.1500:
	v_mov_b32_e32 v2, 0
	s_mov_b32 s6, exec_lo
	global_load_dwordx2 v[5:6], v2, s[26:27] offset:24 glc dlc
	s_waitcnt vmcnt(0)
	buffer_gl1_inv
	buffer_gl0_inv
	s_clause 0x1
	global_load_dwordx2 v[3:4], v2, s[26:27] offset:40
	global_load_dwordx2 v[7:8], v2, s[26:27]
	s_waitcnt vmcnt(1)
	v_and_b32_e32 v4, v4, v6
	v_and_b32_e32 v3, v3, v5
	v_mul_lo_u32 v4, v4, 24
	v_mul_hi_u32 v9, v3, 24
	v_mul_lo_u32 v3, v3, 24
	v_add_nc_u32_e32 v4, v9, v4
	s_waitcnt vmcnt(0)
	v_add_co_u32 v3, vcc_lo, v7, v3
	v_add_co_ci_u32_e32 v4, vcc_lo, v8, v4, vcc_lo
	global_load_dwordx2 v[3:4], v[3:4], off glc dlc
	s_waitcnt vmcnt(0)
	global_atomic_cmpswap_x2 v[8:9], v2, v[3:6], s[26:27] offset:24 glc
	s_waitcnt vmcnt(0)
	buffer_gl1_inv
	buffer_gl0_inv
	v_cmpx_ne_u64_e64 v[8:9], v[5:6]
	s_cbranch_execz .LBB3_1504
; %bb.1501:
	s_mov_b32 s7, 0
	.p2align	6
.LBB3_1502:                             ; =>This Inner Loop Header: Depth=1
	s_sleep 1
	s_clause 0x1
	global_load_dwordx2 v[3:4], v2, s[26:27] offset:40
	global_load_dwordx2 v[10:11], v2, s[26:27]
	v_mov_b32_e32 v5, v8
	v_mov_b32_e32 v6, v9
	s_waitcnt vmcnt(1)
	v_and_b32_e32 v3, v3, v5
	v_and_b32_e32 v4, v4, v6
	s_waitcnt vmcnt(0)
	v_mad_u64_u32 v[7:8], null, v3, 24, v[10:11]
	v_mov_b32_e32 v3, v8
	v_mad_u64_u32 v[3:4], null, v4, 24, v[3:4]
	v_mov_b32_e32 v8, v3
	global_load_dwordx2 v[3:4], v[7:8], off glc dlc
	s_waitcnt vmcnt(0)
	global_atomic_cmpswap_x2 v[8:9], v2, v[3:6], s[26:27] offset:24 glc
	s_waitcnt vmcnt(0)
	buffer_gl1_inv
	buffer_gl0_inv
	v_cmp_eq_u64_e32 vcc_lo, v[8:9], v[5:6]
	s_or_b32 s7, vcc_lo, s7
	s_andn2_b32 exec_lo, exec_lo, s7
	s_cbranch_execnz .LBB3_1502
; %bb.1503:
	s_or_b32 exec_lo, exec_lo, s7
.LBB3_1504:
	s_or_b32 exec_lo, exec_lo, s6
.LBB3_1505:
	s_or_b32 exec_lo, exec_lo, s5
	v_mov_b32_e32 v2, 0
	v_readfirstlane_b32 s6, v8
	v_readfirstlane_b32 s7, v9
	s_mov_b32 s5, exec_lo
	s_clause 0x1
	global_load_dwordx2 v[10:11], v2, s[26:27] offset:40
	global_load_dwordx4 v[4:7], v2, s[26:27]
	s_waitcnt vmcnt(1)
	v_readfirstlane_b32 s10, v10
	v_readfirstlane_b32 s11, v11
	s_and_b64 s[10:11], s[6:7], s[10:11]
	s_mul_i32 s12, s11, 24
	s_mul_hi_u32 s13, s10, 24
	s_mul_i32 s14, s10, 24
	s_add_i32 s13, s13, s12
	s_waitcnt vmcnt(0)
	v_add_co_u32 v8, vcc_lo, v4, s14
	v_add_co_ci_u32_e32 v9, vcc_lo, s13, v5, vcc_lo
	s_and_saveexec_b32 s12, s4
	s_cbranch_execz .LBB3_1507
; %bb.1506:
	v_mov_b32_e32 v10, s5
	v_mov_b32_e32 v11, v2
	;; [unrolled: 1-line block ×4, first 2 shown]
	global_store_dwordx4 v[8:9], v[10:13], off offset:8
.LBB3_1507:
	s_or_b32 exec_lo, exec_lo, s12
	s_lshl_b64 s[10:11], s[10:11], 12
	s_mov_b32 s12, 0
	v_add_co_u32 v6, vcc_lo, v6, s10
	v_add_co_ci_u32_e32 v7, vcc_lo, s11, v7, vcc_lo
	s_mov_b32 s13, s12
	s_mov_b32 s14, s12
	;; [unrolled: 1-line block ×3, first 2 shown]
	v_and_or_b32 v0, 0xffffff1d, v0, 34
	v_mov_b32_e32 v3, v2
	v_readfirstlane_b32 s10, v6
	v_readfirstlane_b32 s11, v7
	v_mov_b32_e32 v10, s12
	v_mov_b32_e32 v11, s13
	;; [unrolled: 1-line block ×4, first 2 shown]
	global_store_dwordx4 v39, v[0:3], s[10:11]
	global_store_dwordx4 v39, v[10:13], s[10:11] offset:16
	global_store_dwordx4 v39, v[10:13], s[10:11] offset:32
	;; [unrolled: 1-line block ×3, first 2 shown]
	s_and_saveexec_b32 s5, s4
	s_cbranch_execz .LBB3_1515
; %bb.1508:
	v_mov_b32_e32 v6, 0
	v_mov_b32_e32 v10, s6
	;; [unrolled: 1-line block ×3, first 2 shown]
	s_clause 0x1
	global_load_dwordx2 v[12:13], v6, s[26:27] offset:32 glc dlc
	global_load_dwordx2 v[0:1], v6, s[26:27] offset:40
	s_waitcnt vmcnt(0)
	v_readfirstlane_b32 s10, v0
	v_readfirstlane_b32 s11, v1
	s_and_b64 s[10:11], s[10:11], s[6:7]
	s_mul_i32 s11, s11, 24
	s_mul_hi_u32 s12, s10, 24
	s_mul_i32 s10, s10, 24
	s_add_i32 s12, s12, s11
	v_add_co_u32 v4, vcc_lo, v4, s10
	v_add_co_ci_u32_e32 v5, vcc_lo, s12, v5, vcc_lo
	s_mov_b32 s10, exec_lo
	global_store_dwordx2 v[4:5], v[12:13], off
	s_waitcnt_vscnt null, 0x0
	global_atomic_cmpswap_x2 v[2:3], v6, v[10:13], s[26:27] offset:32 glc
	s_waitcnt vmcnt(0)
	v_cmpx_ne_u64_e64 v[2:3], v[12:13]
	s_cbranch_execz .LBB3_1511
; %bb.1509:
	s_mov_b32 s11, 0
.LBB3_1510:                             ; =>This Inner Loop Header: Depth=1
	v_mov_b32_e32 v0, s6
	v_mov_b32_e32 v1, s7
	s_sleep 1
	global_store_dwordx2 v[4:5], v[2:3], off
	s_waitcnt_vscnt null, 0x0
	global_atomic_cmpswap_x2 v[0:1], v6, v[0:3], s[26:27] offset:32 glc
	s_waitcnt vmcnt(0)
	v_cmp_eq_u64_e32 vcc_lo, v[0:1], v[2:3]
	v_mov_b32_e32 v3, v1
	v_mov_b32_e32 v2, v0
	s_or_b32 s11, vcc_lo, s11
	s_andn2_b32 exec_lo, exec_lo, s11
	s_cbranch_execnz .LBB3_1510
.LBB3_1511:
	s_or_b32 exec_lo, exec_lo, s10
	v_mov_b32_e32 v3, 0
	s_mov_b32 s11, exec_lo
	s_mov_b32 s10, exec_lo
	v_mbcnt_lo_u32_b32 v2, s11, 0
	global_load_dwordx2 v[0:1], v3, s[26:27] offset:16
	v_cmpx_eq_u32_e32 0, v2
	s_cbranch_execz .LBB3_1513
; %bb.1512:
	s_bcnt1_i32_b32 s11, s11
	v_mov_b32_e32 v2, s11
	s_waitcnt vmcnt(0)
	global_atomic_add_x2 v[0:1], v[2:3], off offset:8
.LBB3_1513:
	s_or_b32 exec_lo, exec_lo, s10
	s_waitcnt vmcnt(0)
	global_load_dwordx2 v[2:3], v[0:1], off offset:16
	s_waitcnt vmcnt(0)
	v_cmp_eq_u64_e32 vcc_lo, 0, v[2:3]
	s_cbranch_vccnz .LBB3_1515
; %bb.1514:
	global_load_dword v0, v[0:1], off offset:24
	v_mov_b32_e32 v1, 0
	s_waitcnt vmcnt(0)
	v_and_b32_e32 v4, 0x7fffff, v0
	s_waitcnt_vscnt null, 0x0
	global_store_dwordx2 v[2:3], v[0:1], off
	v_readfirstlane_b32 m0, v4
	s_sendmsg sendmsg(MSG_INTERRUPT)
.LBB3_1515:
	s_or_b32 exec_lo, exec_lo, s5
	s_branch .LBB3_1519
	.p2align	6
.LBB3_1516:                             ;   in Loop: Header=BB3_1519 Depth=1
	s_or_b32 exec_lo, exec_lo, s5
	v_readfirstlane_b32 s5, v0
	s_cmp_eq_u32 s5, 0
	s_cbranch_scc1 .LBB3_1518
; %bb.1517:                             ;   in Loop: Header=BB3_1519 Depth=1
	s_sleep 1
	s_cbranch_execnz .LBB3_1519
	s_branch .LBB3_1521
	.p2align	6
.LBB3_1518:
	s_branch .LBB3_1521
.LBB3_1519:                             ; =>This Inner Loop Header: Depth=1
	v_mov_b32_e32 v0, 1
	s_and_saveexec_b32 s5, s4
	s_cbranch_execz .LBB3_1516
; %bb.1520:                             ;   in Loop: Header=BB3_1519 Depth=1
	global_load_dword v0, v[8:9], off offset:20 glc dlc
	s_waitcnt vmcnt(0)
	buffer_gl1_inv
	buffer_gl0_inv
	v_and_b32_e32 v0, 1, v0
	s_branch .LBB3_1516
.LBB3_1521:
	s_and_saveexec_b32 s5, s4
	s_cbranch_execz .LBB3_1525
; %bb.1522:
	v_mov_b32_e32 v6, 0
	s_clause 0x2
	global_load_dwordx2 v[2:3], v6, s[26:27] offset:40
	global_load_dwordx2 v[7:8], v6, s[26:27] offset:24 glc dlc
	global_load_dwordx2 v[4:5], v6, s[26:27]
	s_waitcnt vmcnt(2)
	v_add_co_u32 v9, vcc_lo, v2, 1
	v_add_co_ci_u32_e32 v10, vcc_lo, 0, v3, vcc_lo
	v_add_co_u32 v0, vcc_lo, v9, s6
	v_add_co_ci_u32_e32 v1, vcc_lo, s7, v10, vcc_lo
	v_cmp_eq_u64_e32 vcc_lo, 0, v[0:1]
	v_cndmask_b32_e32 v1, v1, v10, vcc_lo
	v_cndmask_b32_e32 v0, v0, v9, vcc_lo
	v_and_b32_e32 v3, v1, v3
	v_and_b32_e32 v2, v0, v2
	v_mul_lo_u32 v3, v3, 24
	v_mul_hi_u32 v9, v2, 24
	v_mul_lo_u32 v2, v2, 24
	v_add_nc_u32_e32 v3, v9, v3
	s_waitcnt vmcnt(0)
	v_add_co_u32 v4, vcc_lo, v4, v2
	v_mov_b32_e32 v2, v7
	v_add_co_ci_u32_e32 v5, vcc_lo, v5, v3, vcc_lo
	v_mov_b32_e32 v3, v8
	global_store_dwordx2 v[4:5], v[7:8], off
	s_waitcnt_vscnt null, 0x0
	global_atomic_cmpswap_x2 v[2:3], v6, v[0:3], s[26:27] offset:24 glc
	s_waitcnt vmcnt(0)
	v_cmp_ne_u64_e32 vcc_lo, v[2:3], v[7:8]
	s_and_b32 exec_lo, exec_lo, vcc_lo
	s_cbranch_execz .LBB3_1525
; %bb.1523:
	s_mov_b32 s4, 0
.LBB3_1524:                             ; =>This Inner Loop Header: Depth=1
	s_sleep 1
	global_store_dwordx2 v[4:5], v[2:3], off
	s_waitcnt_vscnt null, 0x0
	global_atomic_cmpswap_x2 v[7:8], v6, v[0:3], s[26:27] offset:24 glc
	s_waitcnt vmcnt(0)
	v_cmp_eq_u64_e32 vcc_lo, v[7:8], v[2:3]
	v_mov_b32_e32 v2, v7
	v_mov_b32_e32 v3, v8
	s_or_b32 s4, vcc_lo, s4
	s_andn2_b32 exec_lo, exec_lo, s4
	s_cbranch_execnz .LBB3_1524
.LBB3_1525:
	s_or_b32 exec_lo, exec_lo, s5
.LBB3_1526:
	s_getpc_b64 s[4:5]
	s_add_u32 s4, s4, .str.14@rel32@lo+4
	s_addc_u32 s5, s5, .str.14@rel32@hi+12
	s_waitcnt vmcnt(0)
	v_mov_b32_e32 v0, s4
	v_mov_b32_e32 v1, s5
	s_getpc_b64 s[40:41]
	s_add_u32 s40, s40, _ZNK8migraphx13basic_printerIZNS_4coutEvEUlT_E_ElsEPKc@rel32@lo+4
	s_addc_u32 s41, s41, _ZNK8migraphx13basic_printerIZNS_4coutEvEUlT_E_ElsEPKc@rel32@hi+12
	s_mov_b64 s[24:25], s[8:9]
	s_swappc_b64 s[30:31], s[40:41]
	s_getpc_b64 s[4:5]
	s_add_u32 s4, s4, .str.3@rel32@lo+4
	s_addc_u32 s5, s5, .str.3@rel32@hi+12
	v_mov_b32_e32 v0, s4
	v_mov_b32_e32 v1, s5
	s_mov_b64 s[8:9], s[24:25]
	s_swappc_b64 s[30:31], s[40:41]
	v_mov_b32_e32 v0, v48
	v_mov_b32_e32 v1, v49
	s_mov_b64 s[8:9], s[24:25]
	s_getpc_b64 s[42:43]
	s_add_u32 s42, s42, _ZN8migraphx4test12print_streamIKNS_13basic_printerIZNS_4coutEvEUlT_E_EEPiEEvRS3_RKT0_@rel32@lo+4
	s_addc_u32 s43, s43, _ZN8migraphx4test12print_streamIKNS_13basic_printerIZNS_4coutEvEUlT_E_EEPiEEvRS3_RKT0_@rel32@hi+12
	s_swappc_b64 s[30:31], s[42:43]
	s_getpc_b64 s[22:23]
	s_add_u32 s22, s22, .str.8@rel32@lo+4
	s_addc_u32 s23, s23, .str.8@rel32@hi+12
	v_mov_b32_e32 v0, s22
	v_mov_b32_e32 v1, s23
	s_mov_b64 s[8:9], s[24:25]
	s_swappc_b64 s[30:31], s[40:41]
	s_getpc_b64 s[4:5]
	s_add_u32 s4, s4, .str.10@rel32@lo+4
	s_addc_u32 s5, s5, .str.10@rel32@hi+12
	v_mov_b32_e32 v0, s4
	v_mov_b32_e32 v1, s5
	s_mov_b64 s[8:9], s[24:25]
	s_swappc_b64 s[30:31], s[40:41]
	v_mov_b32_e32 v0, s22
	v_mov_b32_e32 v1, s23
	s_mov_b64 s[8:9], s[24:25]
	s_swappc_b64 s[30:31], s[40:41]
	;; [unrolled: 4-line block ×3, first 2 shown]
	s_getpc_b64 s[4:5]
	s_add_u32 s4, s4, .str.4@rel32@lo+4
	s_addc_u32 s5, s5, .str.4@rel32@hi+12
	v_mov_b32_e32 v0, s4
	v_mov_b32_e32 v1, s5
	s_mov_b64 s[8:9], s[24:25]
	s_mov_b64 s[22:23], s[24:25]
	s_swappc_b64 s[30:31], s[40:41]
	v_readfirstlane_b32 s4, v50
	v_mov_b32_e32 v6, 0
	v_mov_b32_e32 v7, 0
	v_cmp_eq_u32_e64 s4, s4, v50
	s_and_saveexec_b32 s5, s4
	s_mov_b32 s14, s38
	s_mov_b32 s13, s37
	;; [unrolled: 1-line block ×3, first 2 shown]
	s_cbranch_execz .LBB3_1532
; %bb.1527:
	v_mov_b32_e32 v0, 0
	s_mov_b32 s6, exec_lo
	global_load_dwordx2 v[3:4], v0, s[26:27] offset:24 glc dlc
	s_waitcnt vmcnt(0)
	buffer_gl1_inv
	buffer_gl0_inv
	s_clause 0x1
	global_load_dwordx2 v[1:2], v0, s[26:27] offset:40
	global_load_dwordx2 v[5:6], v0, s[26:27]
	s_waitcnt vmcnt(1)
	v_and_b32_e32 v2, v2, v4
	v_and_b32_e32 v1, v1, v3
	v_mul_lo_u32 v2, v2, 24
	v_mul_hi_u32 v7, v1, 24
	v_mul_lo_u32 v1, v1, 24
	v_add_nc_u32_e32 v2, v7, v2
	s_waitcnt vmcnt(0)
	v_add_co_u32 v1, vcc_lo, v5, v1
	v_add_co_ci_u32_e32 v2, vcc_lo, v6, v2, vcc_lo
	global_load_dwordx2 v[1:2], v[1:2], off glc dlc
	s_waitcnt vmcnt(0)
	global_atomic_cmpswap_x2 v[6:7], v0, v[1:4], s[26:27] offset:24 glc
	s_waitcnt vmcnt(0)
	buffer_gl1_inv
	buffer_gl0_inv
	v_cmpx_ne_u64_e64 v[6:7], v[3:4]
	s_cbranch_execz .LBB3_1531
; %bb.1528:
	s_mov_b32 s7, 0
	.p2align	6
.LBB3_1529:                             ; =>This Inner Loop Header: Depth=1
	s_sleep 1
	s_clause 0x1
	global_load_dwordx2 v[1:2], v0, s[26:27] offset:40
	global_load_dwordx2 v[8:9], v0, s[26:27]
	v_mov_b32_e32 v3, v6
	v_mov_b32_e32 v4, v7
	s_waitcnt vmcnt(1)
	v_and_b32_e32 v1, v1, v3
	v_and_b32_e32 v2, v2, v4
	s_waitcnt vmcnt(0)
	v_mad_u64_u32 v[5:6], null, v1, 24, v[8:9]
	v_mov_b32_e32 v1, v6
	v_mad_u64_u32 v[1:2], null, v2, 24, v[1:2]
	v_mov_b32_e32 v6, v1
	global_load_dwordx2 v[1:2], v[5:6], off glc dlc
	s_waitcnt vmcnt(0)
	global_atomic_cmpswap_x2 v[6:7], v0, v[1:4], s[26:27] offset:24 glc
	s_waitcnt vmcnt(0)
	buffer_gl1_inv
	buffer_gl0_inv
	v_cmp_eq_u64_e32 vcc_lo, v[6:7], v[3:4]
	s_or_b32 s7, vcc_lo, s7
	s_andn2_b32 exec_lo, exec_lo, s7
	s_cbranch_execnz .LBB3_1529
; %bb.1530:
	s_or_b32 exec_lo, exec_lo, s7
.LBB3_1531:
	s_or_b32 exec_lo, exec_lo, s6
.LBB3_1532:
	s_or_b32 exec_lo, exec_lo, s5
	v_mov_b32_e32 v5, 0
	v_readfirstlane_b32 s6, v6
	v_readfirstlane_b32 s7, v7
	s_mov_b32 s5, exec_lo
	s_clause 0x1
	global_load_dwordx2 v[8:9], v5, s[26:27] offset:40
	global_load_dwordx4 v[0:3], v5, s[26:27]
	s_waitcnt vmcnt(1)
	v_readfirstlane_b32 s8, v8
	v_readfirstlane_b32 s9, v9
	s_and_b64 s[8:9], s[6:7], s[8:9]
	s_mul_i32 s10, s9, 24
	s_mul_hi_u32 s11, s8, 24
	s_mul_i32 s15, s8, 24
	s_add_i32 s11, s11, s10
	s_waitcnt vmcnt(0)
	v_add_co_u32 v8, vcc_lo, v0, s15
	v_add_co_ci_u32_e32 v9, vcc_lo, s11, v1, vcc_lo
	s_and_saveexec_b32 s10, s4
	s_cbranch_execz .LBB3_1534
; %bb.1533:
	v_mov_b32_e32 v4, s5
	v_mov_b32_e32 v6, 2
	;; [unrolled: 1-line block ×3, first 2 shown]
	global_store_dwordx4 v[8:9], v[4:7], off offset:8
.LBB3_1534:
	s_or_b32 exec_lo, exec_lo, s10
	s_lshl_b64 s[8:9], s[8:9], 12
	v_mov_b32_e32 v4, 33
	v_add_co_u32 v2, vcc_lo, v2, s8
	v_add_co_ci_u32_e32 v3, vcc_lo, s9, v3, vcc_lo
	s_mov_b32 s8, 0
	v_add_co_u32 v10, vcc_lo, v2, v39
	s_mov_b32 s11, s8
	s_mov_b32 s9, s8
	;; [unrolled: 1-line block ×3, first 2 shown]
	v_mov_b32_e32 v6, v5
	v_mov_b32_e32 v7, v5
	v_readfirstlane_b32 s16, v2
	v_readfirstlane_b32 s17, v3
	v_mov_b32_e32 v15, s11
	v_add_co_ci_u32_e32 v11, vcc_lo, 0, v3, vcc_lo
	v_mov_b32_e32 v14, s10
	v_mov_b32_e32 v13, s9
	;; [unrolled: 1-line block ×3, first 2 shown]
	global_store_dwordx4 v39, v[4:7], s[16:17]
	global_store_dwordx4 v39, v[12:15], s[16:17] offset:16
	global_store_dwordx4 v39, v[12:15], s[16:17] offset:32
	;; [unrolled: 1-line block ×3, first 2 shown]
	s_and_saveexec_b32 s5, s4
	s_mov_b64 s[8:9], s[22:23]
	s_cbranch_execz .LBB3_1542
; %bb.1535:
	v_mov_b32_e32 v6, 0
	v_mov_b32_e32 v12, s6
	;; [unrolled: 1-line block ×3, first 2 shown]
	s_clause 0x1
	global_load_dwordx2 v[14:15], v6, s[26:27] offset:32 glc dlc
	global_load_dwordx2 v[2:3], v6, s[26:27] offset:40
	s_waitcnt vmcnt(0)
	v_readfirstlane_b32 s10, v2
	v_readfirstlane_b32 s11, v3
	s_and_b64 s[10:11], s[10:11], s[6:7]
	s_mul_i32 s11, s11, 24
	s_mul_hi_u32 s15, s10, 24
	s_mul_i32 s10, s10, 24
	s_add_i32 s15, s15, s11
	v_add_co_u32 v4, vcc_lo, v0, s10
	v_add_co_ci_u32_e32 v5, vcc_lo, s15, v1, vcc_lo
	s_mov_b32 s10, exec_lo
	global_store_dwordx2 v[4:5], v[14:15], off
	s_waitcnt_vscnt null, 0x0
	global_atomic_cmpswap_x2 v[2:3], v6, v[12:15], s[26:27] offset:32 glc
	s_waitcnt vmcnt(0)
	v_cmpx_ne_u64_e64 v[2:3], v[14:15]
	s_cbranch_execz .LBB3_1538
; %bb.1536:
	s_mov_b32 s11, 0
.LBB3_1537:                             ; =>This Inner Loop Header: Depth=1
	v_mov_b32_e32 v0, s6
	v_mov_b32_e32 v1, s7
	s_sleep 1
	global_store_dwordx2 v[4:5], v[2:3], off
	s_waitcnt_vscnt null, 0x0
	global_atomic_cmpswap_x2 v[0:1], v6, v[0:3], s[26:27] offset:32 glc
	s_waitcnt vmcnt(0)
	v_cmp_eq_u64_e32 vcc_lo, v[0:1], v[2:3]
	v_mov_b32_e32 v3, v1
	v_mov_b32_e32 v2, v0
	s_or_b32 s11, vcc_lo, s11
	s_andn2_b32 exec_lo, exec_lo, s11
	s_cbranch_execnz .LBB3_1537
.LBB3_1538:
	s_or_b32 exec_lo, exec_lo, s10
	v_mov_b32_e32 v3, 0
	s_mov_b32 s11, exec_lo
	s_mov_b32 s10, exec_lo
	v_mbcnt_lo_u32_b32 v2, s11, 0
	global_load_dwordx2 v[0:1], v3, s[26:27] offset:16
	v_cmpx_eq_u32_e32 0, v2
	s_cbranch_execz .LBB3_1540
; %bb.1539:
	s_bcnt1_i32_b32 s11, s11
	v_mov_b32_e32 v2, s11
	s_waitcnt vmcnt(0)
	global_atomic_add_x2 v[0:1], v[2:3], off offset:8
.LBB3_1540:
	s_or_b32 exec_lo, exec_lo, s10
	s_waitcnt vmcnt(0)
	global_load_dwordx2 v[2:3], v[0:1], off offset:16
	s_waitcnt vmcnt(0)
	v_cmp_eq_u64_e32 vcc_lo, 0, v[2:3]
	s_cbranch_vccnz .LBB3_1542
; %bb.1541:
	global_load_dword v0, v[0:1], off offset:24
	v_mov_b32_e32 v1, 0
	s_waitcnt vmcnt(0)
	v_and_b32_e32 v4, 0x7fffff, v0
	s_waitcnt_vscnt null, 0x0
	global_store_dwordx2 v[2:3], v[0:1], off
	v_readfirstlane_b32 m0, v4
	s_sendmsg sendmsg(MSG_INTERRUPT)
.LBB3_1542:
	s_or_b32 exec_lo, exec_lo, s5
	s_branch .LBB3_1546
	.p2align	6
.LBB3_1543:                             ;   in Loop: Header=BB3_1546 Depth=1
	s_or_b32 exec_lo, exec_lo, s5
	v_readfirstlane_b32 s5, v0
	s_cmp_eq_u32 s5, 0
	s_cbranch_scc1 .LBB3_1545
; %bb.1544:                             ;   in Loop: Header=BB3_1546 Depth=1
	s_sleep 1
	s_cbranch_execnz .LBB3_1546
	s_branch .LBB3_1548
	.p2align	6
.LBB3_1545:
	s_branch .LBB3_1548
.LBB3_1546:                             ; =>This Inner Loop Header: Depth=1
	v_mov_b32_e32 v0, 1
	s_and_saveexec_b32 s5, s4
	s_cbranch_execz .LBB3_1543
; %bb.1547:                             ;   in Loop: Header=BB3_1546 Depth=1
	global_load_dword v0, v[8:9], off offset:20 glc dlc
	s_waitcnt vmcnt(0)
	buffer_gl1_inv
	buffer_gl0_inv
	v_and_b32_e32 v0, 1, v0
	s_branch .LBB3_1543
.LBB3_1548:
	global_load_dwordx2 v[0:1], v[10:11], off
	s_and_saveexec_b32 s5, s4
	s_cbranch_execz .LBB3_1552
; %bb.1549:
	v_mov_b32_e32 v8, 0
	s_clause 0x2
	global_load_dwordx2 v[4:5], v8, s[26:27] offset:40
	global_load_dwordx2 v[9:10], v8, s[26:27] offset:24 glc dlc
	global_load_dwordx2 v[6:7], v8, s[26:27]
	s_waitcnt vmcnt(2)
	v_add_co_u32 v11, vcc_lo, v4, 1
	v_add_co_ci_u32_e32 v12, vcc_lo, 0, v5, vcc_lo
	v_add_co_u32 v2, vcc_lo, v11, s6
	v_add_co_ci_u32_e32 v3, vcc_lo, s7, v12, vcc_lo
	v_cmp_eq_u64_e32 vcc_lo, 0, v[2:3]
	v_cndmask_b32_e32 v3, v3, v12, vcc_lo
	v_cndmask_b32_e32 v2, v2, v11, vcc_lo
	v_and_b32_e32 v5, v3, v5
	v_and_b32_e32 v4, v2, v4
	v_mul_lo_u32 v5, v5, 24
	v_mul_hi_u32 v11, v4, 24
	v_mul_lo_u32 v4, v4, 24
	v_add_nc_u32_e32 v5, v11, v5
	s_waitcnt vmcnt(0)
	v_add_co_u32 v6, vcc_lo, v6, v4
	v_mov_b32_e32 v4, v9
	v_add_co_ci_u32_e32 v7, vcc_lo, v7, v5, vcc_lo
	v_mov_b32_e32 v5, v10
	global_store_dwordx2 v[6:7], v[9:10], off
	s_waitcnt_vscnt null, 0x0
	global_atomic_cmpswap_x2 v[4:5], v8, v[2:5], s[26:27] offset:24 glc
	s_waitcnt vmcnt(0)
	v_cmp_ne_u64_e32 vcc_lo, v[4:5], v[9:10]
	s_and_b32 exec_lo, exec_lo, vcc_lo
	s_cbranch_execz .LBB3_1552
; %bb.1550:
	s_mov_b32 s4, 0
.LBB3_1551:                             ; =>This Inner Loop Header: Depth=1
	s_sleep 1
	global_store_dwordx2 v[6:7], v[4:5], off
	s_waitcnt_vscnt null, 0x0
	global_atomic_cmpswap_x2 v[9:10], v8, v[2:5], s[26:27] offset:24 glc
	s_waitcnt vmcnt(0)
	v_cmp_eq_u64_e32 vcc_lo, v[9:10], v[4:5]
	v_mov_b32_e32 v4, v9
	v_mov_b32_e32 v5, v10
	s_or_b32 s4, vcc_lo, s4
	s_andn2_b32 exec_lo, exec_lo, s4
	s_cbranch_execnz .LBB3_1551
.LBB3_1552:
	s_or_b32 exec_lo, exec_lo, s5
	s_and_b32 vcc_lo, exec_lo, s35
	s_cbranch_vccz .LBB3_1631
; %bb.1553:
	s_waitcnt vmcnt(0)
	v_and_b32_e32 v31, 2, v0
	v_mov_b32_e32 v6, 0
	v_and_b32_e32 v2, -3, v0
	v_mov_b32_e32 v3, v1
	v_mov_b32_e32 v7, 2
	;; [unrolled: 1-line block ×3, first 2 shown]
	s_mov_b64 s[10:11], 3
	s_getpc_b64 s[6:7]
	s_add_u32 s6, s6, .str.6@rel32@lo+4
	s_addc_u32 s7, s7, .str.6@rel32@hi+12
	s_branch .LBB3_1555
.LBB3_1554:                             ;   in Loop: Header=BB3_1555 Depth=1
	s_or_b32 exec_lo, exec_lo, s5
	s_sub_u32 s10, s10, s16
	s_subb_u32 s11, s11, s17
	s_add_u32 s6, s6, s16
	s_addc_u32 s7, s7, s17
	s_cmp_lg_u64 s[10:11], 0
	s_cbranch_scc0 .LBB3_1630
.LBB3_1555:                             ; =>This Loop Header: Depth=1
                                        ;     Child Loop BB3_1564 Depth 2
                                        ;     Child Loop BB3_1560 Depth 2
	;; [unrolled: 1-line block ×11, first 2 shown]
	v_cmp_lt_u64_e64 s4, s[10:11], 56
	v_cmp_gt_u64_e64 s5, s[10:11], 7
                                        ; implicit-def: $vgpr11_vgpr12
                                        ; implicit-def: $sgpr15
	s_and_b32 s4, s4, exec_lo
	s_cselect_b32 s17, s11, 0
	s_cselect_b32 s16, s10, 56
	s_and_b32 vcc_lo, exec_lo, s5
	s_mov_b32 s4, -1
	s_cbranch_vccz .LBB3_1562
; %bb.1556:                             ;   in Loop: Header=BB3_1555 Depth=1
	s_andn2_b32 vcc_lo, exec_lo, s4
	s_mov_b64 s[4:5], s[6:7]
	s_cbranch_vccz .LBB3_1566
.LBB3_1557:                             ;   in Loop: Header=BB3_1555 Depth=1
	s_cmp_gt_u32 s15, 7
	s_cbranch_scc1 .LBB3_1567
.LBB3_1558:                             ;   in Loop: Header=BB3_1555 Depth=1
	v_mov_b32_e32 v13, 0
	v_mov_b32_e32 v14, 0
	s_cmp_eq_u32 s15, 0
	s_cbranch_scc1 .LBB3_1561
; %bb.1559:                             ;   in Loop: Header=BB3_1555 Depth=1
	s_mov_b64 s[18:19], 0
	s_mov_b64 s[20:21], 0
.LBB3_1560:                             ;   Parent Loop BB3_1555 Depth=1
                                        ; =>  This Inner Loop Header: Depth=2
	s_add_u32 s22, s4, s20
	s_addc_u32 s23, s5, s21
	s_add_u32 s20, s20, 1
	global_load_ubyte v4, v6, s[22:23]
	s_addc_u32 s21, s21, 0
	s_waitcnt vmcnt(0)
	v_and_b32_e32 v5, 0xffff, v4
	v_lshlrev_b64 v[4:5], s18, v[5:6]
	s_add_u32 s18, s18, 8
	s_addc_u32 s19, s19, 0
	s_cmp_lg_u32 s15, s20
	v_or_b32_e32 v13, v4, v13
	v_or_b32_e32 v14, v5, v14
	s_cbranch_scc1 .LBB3_1560
.LBB3_1561:                             ;   in Loop: Header=BB3_1555 Depth=1
	s_mov_b32 s22, 0
	s_cbranch_execz .LBB3_1568
	s_branch .LBB3_1569
.LBB3_1562:                             ;   in Loop: Header=BB3_1555 Depth=1
	v_mov_b32_e32 v11, 0
	v_mov_b32_e32 v12, 0
	s_cmp_eq_u64 s[10:11], 0
	s_mov_b64 s[4:5], 0
	s_cbranch_scc1 .LBB3_1565
; %bb.1563:                             ;   in Loop: Header=BB3_1555 Depth=1
	v_mov_b32_e32 v11, 0
	v_mov_b32_e32 v12, 0
	s_lshl_b64 s[18:19], s[16:17], 3
	s_mov_b64 s[20:21], s[6:7]
.LBB3_1564:                             ;   Parent Loop BB3_1555 Depth=1
                                        ; =>  This Inner Loop Header: Depth=2
	global_load_ubyte v4, v6, s[20:21]
	s_waitcnt vmcnt(0)
	v_and_b32_e32 v5, 0xffff, v4
	v_lshlrev_b64 v[4:5], s4, v[5:6]
	s_add_u32 s4, s4, 8
	s_addc_u32 s5, s5, 0
	s_add_u32 s20, s20, 1
	s_addc_u32 s21, s21, 0
	s_cmp_lg_u32 s18, s4
	v_or_b32_e32 v11, v4, v11
	v_or_b32_e32 v12, v5, v12
	s_cbranch_scc1 .LBB3_1564
.LBB3_1565:                             ;   in Loop: Header=BB3_1555 Depth=1
	s_mov_b32 s15, 0
	s_mov_b64 s[4:5], s[6:7]
	s_cbranch_execnz .LBB3_1557
.LBB3_1566:                             ;   in Loop: Header=BB3_1555 Depth=1
	global_load_dwordx2 v[11:12], v6, s[6:7]
	s_add_i32 s15, s16, -8
	s_add_u32 s4, s6, 8
	s_addc_u32 s5, s7, 0
	s_cmp_gt_u32 s15, 7
	s_cbranch_scc0 .LBB3_1558
.LBB3_1567:                             ;   in Loop: Header=BB3_1555 Depth=1
                                        ; implicit-def: $vgpr13_vgpr14
                                        ; implicit-def: $sgpr22
.LBB3_1568:                             ;   in Loop: Header=BB3_1555 Depth=1
	global_load_dwordx2 v[13:14], v6, s[4:5]
	s_add_i32 s22, s15, -8
	s_add_u32 s4, s4, 8
	s_addc_u32 s5, s5, 0
.LBB3_1569:                             ;   in Loop: Header=BB3_1555 Depth=1
	s_cmp_gt_u32 s22, 7
	s_cbranch_scc1 .LBB3_1574
; %bb.1570:                             ;   in Loop: Header=BB3_1555 Depth=1
	v_mov_b32_e32 v15, 0
	v_mov_b32_e32 v16, 0
	s_cmp_eq_u32 s22, 0
	s_cbranch_scc1 .LBB3_1573
; %bb.1571:                             ;   in Loop: Header=BB3_1555 Depth=1
	s_mov_b64 s[18:19], 0
	s_mov_b64 s[20:21], 0
.LBB3_1572:                             ;   Parent Loop BB3_1555 Depth=1
                                        ; =>  This Inner Loop Header: Depth=2
	s_add_u32 s24, s4, s20
	s_addc_u32 s25, s5, s21
	s_add_u32 s20, s20, 1
	global_load_ubyte v4, v6, s[24:25]
	s_addc_u32 s21, s21, 0
	s_waitcnt vmcnt(0)
	v_and_b32_e32 v5, 0xffff, v4
	v_lshlrev_b64 v[4:5], s18, v[5:6]
	s_add_u32 s18, s18, 8
	s_addc_u32 s19, s19, 0
	s_cmp_lg_u32 s22, s20
	v_or_b32_e32 v15, v4, v15
	v_or_b32_e32 v16, v5, v16
	s_cbranch_scc1 .LBB3_1572
.LBB3_1573:                             ;   in Loop: Header=BB3_1555 Depth=1
	s_mov_b32 s15, 0
	s_cbranch_execz .LBB3_1575
	s_branch .LBB3_1576
.LBB3_1574:                             ;   in Loop: Header=BB3_1555 Depth=1
                                        ; implicit-def: $sgpr15
.LBB3_1575:                             ;   in Loop: Header=BB3_1555 Depth=1
	global_load_dwordx2 v[15:16], v6, s[4:5]
	s_add_i32 s15, s22, -8
	s_add_u32 s4, s4, 8
	s_addc_u32 s5, s5, 0
.LBB3_1576:                             ;   in Loop: Header=BB3_1555 Depth=1
	s_cmp_gt_u32 s15, 7
	s_cbranch_scc1 .LBB3_1581
; %bb.1577:                             ;   in Loop: Header=BB3_1555 Depth=1
	v_mov_b32_e32 v17, 0
	v_mov_b32_e32 v18, 0
	s_cmp_eq_u32 s15, 0
	s_cbranch_scc1 .LBB3_1580
; %bb.1578:                             ;   in Loop: Header=BB3_1555 Depth=1
	s_mov_b64 s[18:19], 0
	s_mov_b64 s[20:21], 0
.LBB3_1579:                             ;   Parent Loop BB3_1555 Depth=1
                                        ; =>  This Inner Loop Header: Depth=2
	s_add_u32 s22, s4, s20
	s_addc_u32 s23, s5, s21
	s_add_u32 s20, s20, 1
	global_load_ubyte v4, v6, s[22:23]
	s_addc_u32 s21, s21, 0
	s_waitcnt vmcnt(0)
	v_and_b32_e32 v5, 0xffff, v4
	v_lshlrev_b64 v[4:5], s18, v[5:6]
	s_add_u32 s18, s18, 8
	s_addc_u32 s19, s19, 0
	s_cmp_lg_u32 s15, s20
	v_or_b32_e32 v17, v4, v17
	v_or_b32_e32 v18, v5, v18
	s_cbranch_scc1 .LBB3_1579
.LBB3_1580:                             ;   in Loop: Header=BB3_1555 Depth=1
	s_mov_b32 s22, 0
	s_cbranch_execz .LBB3_1582
	s_branch .LBB3_1583
.LBB3_1581:                             ;   in Loop: Header=BB3_1555 Depth=1
                                        ; implicit-def: $vgpr17_vgpr18
                                        ; implicit-def: $sgpr22
.LBB3_1582:                             ;   in Loop: Header=BB3_1555 Depth=1
	global_load_dwordx2 v[17:18], v6, s[4:5]
	s_add_i32 s22, s15, -8
	s_add_u32 s4, s4, 8
	s_addc_u32 s5, s5, 0
.LBB3_1583:                             ;   in Loop: Header=BB3_1555 Depth=1
	s_cmp_gt_u32 s22, 7
	s_cbranch_scc1 .LBB3_1588
; %bb.1584:                             ;   in Loop: Header=BB3_1555 Depth=1
	v_mov_b32_e32 v19, 0
	v_mov_b32_e32 v20, 0
	s_cmp_eq_u32 s22, 0
	s_cbranch_scc1 .LBB3_1587
; %bb.1585:                             ;   in Loop: Header=BB3_1555 Depth=1
	s_mov_b64 s[18:19], 0
	s_mov_b64 s[20:21], 0
.LBB3_1586:                             ;   Parent Loop BB3_1555 Depth=1
                                        ; =>  This Inner Loop Header: Depth=2
	s_add_u32 s24, s4, s20
	s_addc_u32 s25, s5, s21
	s_add_u32 s20, s20, 1
	global_load_ubyte v4, v6, s[24:25]
	s_addc_u32 s21, s21, 0
	s_waitcnt vmcnt(0)
	v_and_b32_e32 v5, 0xffff, v4
	v_lshlrev_b64 v[4:5], s18, v[5:6]
	s_add_u32 s18, s18, 8
	s_addc_u32 s19, s19, 0
	s_cmp_lg_u32 s22, s20
	v_or_b32_e32 v19, v4, v19
	v_or_b32_e32 v20, v5, v20
	s_cbranch_scc1 .LBB3_1586
.LBB3_1587:                             ;   in Loop: Header=BB3_1555 Depth=1
	s_mov_b32 s15, 0
	s_cbranch_execz .LBB3_1589
	s_branch .LBB3_1590
.LBB3_1588:                             ;   in Loop: Header=BB3_1555 Depth=1
                                        ; implicit-def: $sgpr15
.LBB3_1589:                             ;   in Loop: Header=BB3_1555 Depth=1
	global_load_dwordx2 v[19:20], v6, s[4:5]
	s_add_i32 s15, s22, -8
	s_add_u32 s4, s4, 8
	s_addc_u32 s5, s5, 0
.LBB3_1590:                             ;   in Loop: Header=BB3_1555 Depth=1
	s_cmp_gt_u32 s15, 7
	s_cbranch_scc1 .LBB3_1595
; %bb.1591:                             ;   in Loop: Header=BB3_1555 Depth=1
	v_mov_b32_e32 v21, 0
	v_mov_b32_e32 v22, 0
	s_cmp_eq_u32 s15, 0
	s_cbranch_scc1 .LBB3_1594
; %bb.1592:                             ;   in Loop: Header=BB3_1555 Depth=1
	s_mov_b64 s[18:19], 0
	s_mov_b64 s[20:21], 0
.LBB3_1593:                             ;   Parent Loop BB3_1555 Depth=1
                                        ; =>  This Inner Loop Header: Depth=2
	s_add_u32 s22, s4, s20
	s_addc_u32 s23, s5, s21
	s_add_u32 s20, s20, 1
	global_load_ubyte v4, v6, s[22:23]
	s_addc_u32 s21, s21, 0
	s_waitcnt vmcnt(0)
	v_and_b32_e32 v5, 0xffff, v4
	v_lshlrev_b64 v[4:5], s18, v[5:6]
	s_add_u32 s18, s18, 8
	s_addc_u32 s19, s19, 0
	s_cmp_lg_u32 s15, s20
	v_or_b32_e32 v21, v4, v21
	v_or_b32_e32 v22, v5, v22
	s_cbranch_scc1 .LBB3_1593
.LBB3_1594:                             ;   in Loop: Header=BB3_1555 Depth=1
	s_mov_b32 s22, 0
	s_cbranch_execz .LBB3_1596
	s_branch .LBB3_1597
.LBB3_1595:                             ;   in Loop: Header=BB3_1555 Depth=1
                                        ; implicit-def: $vgpr21_vgpr22
                                        ; implicit-def: $sgpr22
.LBB3_1596:                             ;   in Loop: Header=BB3_1555 Depth=1
	global_load_dwordx2 v[21:22], v6, s[4:5]
	s_add_i32 s22, s15, -8
	s_add_u32 s4, s4, 8
	s_addc_u32 s5, s5, 0
.LBB3_1597:                             ;   in Loop: Header=BB3_1555 Depth=1
	s_cmp_gt_u32 s22, 7
	s_cbranch_scc1 .LBB3_1602
; %bb.1598:                             ;   in Loop: Header=BB3_1555 Depth=1
	v_mov_b32_e32 v23, 0
	v_mov_b32_e32 v24, 0
	s_cmp_eq_u32 s22, 0
	s_cbranch_scc1 .LBB3_1601
; %bb.1599:                             ;   in Loop: Header=BB3_1555 Depth=1
	s_mov_b64 s[18:19], 0
	s_mov_b64 s[20:21], s[4:5]
.LBB3_1600:                             ;   Parent Loop BB3_1555 Depth=1
                                        ; =>  This Inner Loop Header: Depth=2
	global_load_ubyte v4, v6, s[20:21]
	s_add_i32 s22, s22, -1
	s_waitcnt vmcnt(0)
	v_and_b32_e32 v5, 0xffff, v4
	v_lshlrev_b64 v[4:5], s18, v[5:6]
	s_add_u32 s18, s18, 8
	s_addc_u32 s19, s19, 0
	s_add_u32 s20, s20, 1
	s_addc_u32 s21, s21, 0
	s_cmp_lg_u32 s22, 0
	v_or_b32_e32 v23, v4, v23
	v_or_b32_e32 v24, v5, v24
	s_cbranch_scc1 .LBB3_1600
.LBB3_1601:                             ;   in Loop: Header=BB3_1555 Depth=1
	s_cbranch_execz .LBB3_1603
	s_branch .LBB3_1604
.LBB3_1602:                             ;   in Loop: Header=BB3_1555 Depth=1
.LBB3_1603:                             ;   in Loop: Header=BB3_1555 Depth=1
	global_load_dwordx2 v[23:24], v6, s[4:5]
.LBB3_1604:                             ;   in Loop: Header=BB3_1555 Depth=1
	v_readfirstlane_b32 s4, v50
	s_waitcnt vmcnt(0)
	v_mov_b32_e32 v4, 0
	v_mov_b32_e32 v5, 0
	v_cmp_eq_u32_e64 s4, s4, v50
	s_and_saveexec_b32 s5, s4
	s_cbranch_execz .LBB3_1610
; %bb.1605:                             ;   in Loop: Header=BB3_1555 Depth=1
	global_load_dwordx2 v[27:28], v6, s[26:27] offset:24 glc dlc
	s_waitcnt vmcnt(0)
	buffer_gl1_inv
	buffer_gl0_inv
	s_clause 0x1
	global_load_dwordx2 v[4:5], v6, s[26:27] offset:40
	global_load_dwordx2 v[9:10], v6, s[26:27]
	s_mov_b32 s15, exec_lo
	s_waitcnt vmcnt(1)
	v_and_b32_e32 v5, v5, v28
	v_and_b32_e32 v4, v4, v27
	v_mul_lo_u32 v5, v5, 24
	v_mul_hi_u32 v25, v4, 24
	v_mul_lo_u32 v4, v4, 24
	v_add_nc_u32_e32 v5, v25, v5
	s_waitcnt vmcnt(0)
	v_add_co_u32 v4, vcc_lo, v9, v4
	v_add_co_ci_u32_e32 v5, vcc_lo, v10, v5, vcc_lo
	global_load_dwordx2 v[25:26], v[4:5], off glc dlc
	s_waitcnt vmcnt(0)
	global_atomic_cmpswap_x2 v[4:5], v6, v[25:28], s[26:27] offset:24 glc
	s_waitcnt vmcnt(0)
	buffer_gl1_inv
	buffer_gl0_inv
	v_cmpx_ne_u64_e64 v[4:5], v[27:28]
	s_cbranch_execz .LBB3_1609
; %bb.1606:                             ;   in Loop: Header=BB3_1555 Depth=1
	s_mov_b32 s18, 0
	.p2align	6
.LBB3_1607:                             ;   Parent Loop BB3_1555 Depth=1
                                        ; =>  This Inner Loop Header: Depth=2
	s_sleep 1
	s_clause 0x1
	global_load_dwordx2 v[9:10], v6, s[26:27] offset:40
	global_load_dwordx2 v[25:26], v6, s[26:27]
	v_mov_b32_e32 v28, v5
	v_mov_b32_e32 v27, v4
	s_waitcnt vmcnt(1)
	v_and_b32_e32 v4, v9, v27
	v_and_b32_e32 v9, v10, v28
	s_waitcnt vmcnt(0)
	v_mad_u64_u32 v[4:5], null, v4, 24, v[25:26]
	v_mad_u64_u32 v[9:10], null, v9, 24, v[5:6]
	v_mov_b32_e32 v5, v9
	global_load_dwordx2 v[25:26], v[4:5], off glc dlc
	s_waitcnt vmcnt(0)
	global_atomic_cmpswap_x2 v[4:5], v6, v[25:28], s[26:27] offset:24 glc
	s_waitcnt vmcnt(0)
	buffer_gl1_inv
	buffer_gl0_inv
	v_cmp_eq_u64_e32 vcc_lo, v[4:5], v[27:28]
	s_or_b32 s18, vcc_lo, s18
	s_andn2_b32 exec_lo, exec_lo, s18
	s_cbranch_execnz .LBB3_1607
; %bb.1608:                             ;   in Loop: Header=BB3_1555 Depth=1
	s_or_b32 exec_lo, exec_lo, s18
.LBB3_1609:                             ;   in Loop: Header=BB3_1555 Depth=1
	s_or_b32 exec_lo, exec_lo, s15
.LBB3_1610:                             ;   in Loop: Header=BB3_1555 Depth=1
	s_or_b32 exec_lo, exec_lo, s5
	s_clause 0x1
	global_load_dwordx2 v[9:10], v6, s[26:27] offset:40
	global_load_dwordx4 v[25:28], v6, s[26:27]
	v_readfirstlane_b32 s18, v4
	v_readfirstlane_b32 s19, v5
	s_mov_b32 s5, exec_lo
	s_waitcnt vmcnt(1)
	v_readfirstlane_b32 s20, v9
	v_readfirstlane_b32 s21, v10
	s_and_b64 s[20:21], s[18:19], s[20:21]
	s_mul_i32 s15, s21, 24
	s_mul_hi_u32 s22, s20, 24
	s_mul_i32 s23, s20, 24
	s_add_i32 s22, s22, s15
	s_waitcnt vmcnt(0)
	v_add_co_u32 v29, vcc_lo, v25, s23
	v_add_co_ci_u32_e32 v30, vcc_lo, s22, v26, vcc_lo
	s_and_saveexec_b32 s15, s4
	s_cbranch_execz .LBB3_1612
; %bb.1611:                             ;   in Loop: Header=BB3_1555 Depth=1
	v_mov_b32_e32 v5, s5
	global_store_dwordx4 v[29:30], v[5:8], off offset:8
.LBB3_1612:                             ;   in Loop: Header=BB3_1555 Depth=1
	s_or_b32 exec_lo, exec_lo, s15
	s_lshl_b64 s[20:21], s[20:21], 12
	v_cmp_gt_u64_e64 vcc_lo, s[10:11], 56
	v_or_b32_e32 v5, v2, v31
	v_add_co_u32 v27, s5, v27, s20
	v_add_co_ci_u32_e64 v28, s5, s21, v28, s5
	s_lshl_b32 s5, s16, 2
	v_or_b32_e32 v4, 0, v3
	v_cndmask_b32_e32 v2, v5, v2, vcc_lo
	s_add_i32 s5, s5, 28
	v_readfirstlane_b32 s20, v27
	s_and_b32 s5, s5, 0x1e0
	v_cndmask_b32_e32 v10, v4, v3, vcc_lo
	v_readfirstlane_b32 s21, v28
	v_and_or_b32 v9, 0xffffff1f, v2, s5
	global_store_dwordx4 v39, v[9:12], s[20:21]
	global_store_dwordx4 v39, v[13:16], s[20:21] offset:16
	global_store_dwordx4 v39, v[17:20], s[20:21] offset:32
	;; [unrolled: 1-line block ×3, first 2 shown]
	s_and_saveexec_b32 s5, s4
	s_cbranch_execz .LBB3_1620
; %bb.1613:                             ;   in Loop: Header=BB3_1555 Depth=1
	s_clause 0x1
	global_load_dwordx2 v[13:14], v6, s[26:27] offset:32 glc dlc
	global_load_dwordx2 v[2:3], v6, s[26:27] offset:40
	v_mov_b32_e32 v11, s18
	v_mov_b32_e32 v12, s19
	s_waitcnt vmcnt(0)
	v_readfirstlane_b32 s20, v2
	v_readfirstlane_b32 s21, v3
	s_and_b64 s[20:21], s[20:21], s[18:19]
	s_mul_i32 s15, s21, 24
	s_mul_hi_u32 s21, s20, 24
	s_mul_i32 s20, s20, 24
	s_add_i32 s21, s21, s15
	v_add_co_u32 v9, vcc_lo, v25, s20
	v_add_co_ci_u32_e32 v10, vcc_lo, s21, v26, vcc_lo
	s_mov_b32 s15, exec_lo
	global_store_dwordx2 v[9:10], v[13:14], off
	s_waitcnt_vscnt null, 0x0
	global_atomic_cmpswap_x2 v[4:5], v6, v[11:14], s[26:27] offset:32 glc
	s_waitcnt vmcnt(0)
	v_cmpx_ne_u64_e64 v[4:5], v[13:14]
	s_cbranch_execz .LBB3_1616
; %bb.1614:                             ;   in Loop: Header=BB3_1555 Depth=1
	s_mov_b32 s20, 0
.LBB3_1615:                             ;   Parent Loop BB3_1555 Depth=1
                                        ; =>  This Inner Loop Header: Depth=2
	v_mov_b32_e32 v2, s18
	v_mov_b32_e32 v3, s19
	s_sleep 1
	global_store_dwordx2 v[9:10], v[4:5], off
	s_waitcnt_vscnt null, 0x0
	global_atomic_cmpswap_x2 v[2:3], v6, v[2:5], s[26:27] offset:32 glc
	s_waitcnt vmcnt(0)
	v_cmp_eq_u64_e32 vcc_lo, v[2:3], v[4:5]
	v_mov_b32_e32 v5, v3
	v_mov_b32_e32 v4, v2
	s_or_b32 s20, vcc_lo, s20
	s_andn2_b32 exec_lo, exec_lo, s20
	s_cbranch_execnz .LBB3_1615
.LBB3_1616:                             ;   in Loop: Header=BB3_1555 Depth=1
	s_or_b32 exec_lo, exec_lo, s15
	global_load_dwordx2 v[2:3], v6, s[26:27] offset:16
	s_mov_b32 s20, exec_lo
	s_mov_b32 s15, exec_lo
	v_mbcnt_lo_u32_b32 v4, s20, 0
	v_cmpx_eq_u32_e32 0, v4
	s_cbranch_execz .LBB3_1618
; %bb.1617:                             ;   in Loop: Header=BB3_1555 Depth=1
	s_bcnt1_i32_b32 s20, s20
	v_mov_b32_e32 v5, s20
	s_waitcnt vmcnt(0)
	global_atomic_add_x2 v[2:3], v[5:6], off offset:8
.LBB3_1618:                             ;   in Loop: Header=BB3_1555 Depth=1
	s_or_b32 exec_lo, exec_lo, s15
	s_waitcnt vmcnt(0)
	global_load_dwordx2 v[9:10], v[2:3], off offset:16
	s_waitcnt vmcnt(0)
	v_cmp_eq_u64_e32 vcc_lo, 0, v[9:10]
	s_cbranch_vccnz .LBB3_1620
; %bb.1619:                             ;   in Loop: Header=BB3_1555 Depth=1
	global_load_dword v5, v[2:3], off offset:24
	s_waitcnt vmcnt(0)
	v_and_b32_e32 v2, 0x7fffff, v5
	s_waitcnt_vscnt null, 0x0
	global_store_dwordx2 v[9:10], v[5:6], off
	v_readfirstlane_b32 m0, v2
	s_sendmsg sendmsg(MSG_INTERRUPT)
.LBB3_1620:                             ;   in Loop: Header=BB3_1555 Depth=1
	s_or_b32 exec_lo, exec_lo, s5
	v_add_co_u32 v2, vcc_lo, v27, v39
	v_add_co_ci_u32_e32 v3, vcc_lo, 0, v28, vcc_lo
	s_branch .LBB3_1624
	.p2align	6
.LBB3_1621:                             ;   in Loop: Header=BB3_1624 Depth=2
	s_or_b32 exec_lo, exec_lo, s5
	v_readfirstlane_b32 s5, v4
	s_cmp_eq_u32 s5, 0
	s_cbranch_scc1 .LBB3_1623
; %bb.1622:                             ;   in Loop: Header=BB3_1624 Depth=2
	s_sleep 1
	s_cbranch_execnz .LBB3_1624
	s_branch .LBB3_1626
	.p2align	6
.LBB3_1623:                             ;   in Loop: Header=BB3_1555 Depth=1
	s_branch .LBB3_1626
.LBB3_1624:                             ;   Parent Loop BB3_1555 Depth=1
                                        ; =>  This Inner Loop Header: Depth=2
	v_mov_b32_e32 v4, 1
	s_and_saveexec_b32 s5, s4
	s_cbranch_execz .LBB3_1621
; %bb.1625:                             ;   in Loop: Header=BB3_1624 Depth=2
	global_load_dword v4, v[29:30], off offset:20 glc dlc
	s_waitcnt vmcnt(0)
	buffer_gl1_inv
	buffer_gl0_inv
	v_and_b32_e32 v4, 1, v4
	s_branch .LBB3_1621
.LBB3_1626:                             ;   in Loop: Header=BB3_1555 Depth=1
	global_load_dwordx4 v[2:5], v[2:3], off
	s_and_saveexec_b32 s5, s4
	s_cbranch_execz .LBB3_1554
; %bb.1627:                             ;   in Loop: Header=BB3_1555 Depth=1
	s_clause 0x2
	global_load_dwordx2 v[4:5], v6, s[26:27] offset:40
	global_load_dwordx2 v[13:14], v6, s[26:27] offset:24 glc dlc
	global_load_dwordx2 v[11:12], v6, s[26:27]
	s_waitcnt vmcnt(2)
	v_add_co_u32 v15, vcc_lo, v4, 1
	v_add_co_ci_u32_e32 v16, vcc_lo, 0, v5, vcc_lo
	v_add_co_u32 v9, vcc_lo, v15, s18
	v_add_co_ci_u32_e32 v10, vcc_lo, s19, v16, vcc_lo
	v_cmp_eq_u64_e32 vcc_lo, 0, v[9:10]
	v_cndmask_b32_e32 v10, v10, v16, vcc_lo
	v_cndmask_b32_e32 v9, v9, v15, vcc_lo
	v_and_b32_e32 v5, v10, v5
	v_and_b32_e32 v4, v9, v4
	v_mul_lo_u32 v5, v5, 24
	v_mul_hi_u32 v15, v4, 24
	v_mul_lo_u32 v4, v4, 24
	v_add_nc_u32_e32 v5, v15, v5
	s_waitcnt vmcnt(0)
	v_add_co_u32 v4, vcc_lo, v11, v4
	v_mov_b32_e32 v11, v13
	v_add_co_ci_u32_e32 v5, vcc_lo, v12, v5, vcc_lo
	v_mov_b32_e32 v12, v14
	global_store_dwordx2 v[4:5], v[13:14], off
	s_waitcnt_vscnt null, 0x0
	global_atomic_cmpswap_x2 v[11:12], v6, v[9:12], s[26:27] offset:24 glc
	s_waitcnt vmcnt(0)
	v_cmp_ne_u64_e32 vcc_lo, v[11:12], v[13:14]
	s_and_b32 exec_lo, exec_lo, vcc_lo
	s_cbranch_execz .LBB3_1554
; %bb.1628:                             ;   in Loop: Header=BB3_1555 Depth=1
	s_mov_b32 s4, 0
.LBB3_1629:                             ;   Parent Loop BB3_1555 Depth=1
                                        ; =>  This Inner Loop Header: Depth=2
	s_sleep 1
	global_store_dwordx2 v[4:5], v[11:12], off
	s_waitcnt_vscnt null, 0x0
	global_atomic_cmpswap_x2 v[13:14], v6, v[9:12], s[26:27] offset:24 glc
	s_waitcnt vmcnt(0)
	v_cmp_eq_u64_e32 vcc_lo, v[13:14], v[11:12]
	v_mov_b32_e32 v11, v13
	v_mov_b32_e32 v12, v14
	s_or_b32 s4, vcc_lo, s4
	s_andn2_b32 exec_lo, exec_lo, s4
	s_cbranch_execnz .LBB3_1629
	s_branch .LBB3_1554
.LBB3_1630:
	s_branch .LBB3_1659
.LBB3_1631:
                                        ; implicit-def: $vgpr2_vgpr3
	s_cbranch_execz .LBB3_1659
; %bb.1632:
	v_readfirstlane_b32 s4, v50
	v_mov_b32_e32 v8, 0
	v_mov_b32_e32 v9, 0
	v_cmp_eq_u32_e64 s4, s4, v50
	s_and_saveexec_b32 s5, s4
	s_cbranch_execz .LBB3_1638
; %bb.1633:
	s_waitcnt vmcnt(0)
	v_mov_b32_e32 v2, 0
	s_mov_b32 s6, exec_lo
	global_load_dwordx2 v[5:6], v2, s[26:27] offset:24 glc dlc
	s_waitcnt vmcnt(0)
	buffer_gl1_inv
	buffer_gl0_inv
	s_clause 0x1
	global_load_dwordx2 v[3:4], v2, s[26:27] offset:40
	global_load_dwordx2 v[7:8], v2, s[26:27]
	s_waitcnt vmcnt(1)
	v_and_b32_e32 v4, v4, v6
	v_and_b32_e32 v3, v3, v5
	v_mul_lo_u32 v4, v4, 24
	v_mul_hi_u32 v9, v3, 24
	v_mul_lo_u32 v3, v3, 24
	v_add_nc_u32_e32 v4, v9, v4
	s_waitcnt vmcnt(0)
	v_add_co_u32 v3, vcc_lo, v7, v3
	v_add_co_ci_u32_e32 v4, vcc_lo, v8, v4, vcc_lo
	global_load_dwordx2 v[3:4], v[3:4], off glc dlc
	s_waitcnt vmcnt(0)
	global_atomic_cmpswap_x2 v[8:9], v2, v[3:6], s[26:27] offset:24 glc
	s_waitcnt vmcnt(0)
	buffer_gl1_inv
	buffer_gl0_inv
	v_cmpx_ne_u64_e64 v[8:9], v[5:6]
	s_cbranch_execz .LBB3_1637
; %bb.1634:
	s_mov_b32 s7, 0
	.p2align	6
.LBB3_1635:                             ; =>This Inner Loop Header: Depth=1
	s_sleep 1
	s_clause 0x1
	global_load_dwordx2 v[3:4], v2, s[26:27] offset:40
	global_load_dwordx2 v[10:11], v2, s[26:27]
	v_mov_b32_e32 v5, v8
	v_mov_b32_e32 v6, v9
	s_waitcnt vmcnt(1)
	v_and_b32_e32 v3, v3, v5
	v_and_b32_e32 v4, v4, v6
	s_waitcnt vmcnt(0)
	v_mad_u64_u32 v[7:8], null, v3, 24, v[10:11]
	v_mov_b32_e32 v3, v8
	v_mad_u64_u32 v[3:4], null, v4, 24, v[3:4]
	v_mov_b32_e32 v8, v3
	global_load_dwordx2 v[3:4], v[7:8], off glc dlc
	s_waitcnt vmcnt(0)
	global_atomic_cmpswap_x2 v[8:9], v2, v[3:6], s[26:27] offset:24 glc
	s_waitcnt vmcnt(0)
	buffer_gl1_inv
	buffer_gl0_inv
	v_cmp_eq_u64_e32 vcc_lo, v[8:9], v[5:6]
	s_or_b32 s7, vcc_lo, s7
	s_andn2_b32 exec_lo, exec_lo, s7
	s_cbranch_execnz .LBB3_1635
; %bb.1636:
	s_or_b32 exec_lo, exec_lo, s7
.LBB3_1637:
	s_or_b32 exec_lo, exec_lo, s6
.LBB3_1638:
	s_or_b32 exec_lo, exec_lo, s5
	s_waitcnt vmcnt(0)
	v_mov_b32_e32 v2, 0
	v_readfirstlane_b32 s6, v8
	v_readfirstlane_b32 s7, v9
	s_mov_b32 s5, exec_lo
	s_clause 0x1
	global_load_dwordx2 v[10:11], v2, s[26:27] offset:40
	global_load_dwordx4 v[4:7], v2, s[26:27]
	s_waitcnt vmcnt(1)
	v_readfirstlane_b32 s10, v10
	v_readfirstlane_b32 s11, v11
	s_and_b64 s[10:11], s[6:7], s[10:11]
	s_mul_i32 s15, s11, 24
	s_mul_hi_u32 s16, s10, 24
	s_mul_i32 s17, s10, 24
	s_add_i32 s16, s16, s15
	s_waitcnt vmcnt(0)
	v_add_co_u32 v8, vcc_lo, v4, s17
	v_add_co_ci_u32_e32 v9, vcc_lo, s16, v5, vcc_lo
	s_and_saveexec_b32 s15, s4
	s_cbranch_execz .LBB3_1640
; %bb.1639:
	v_mov_b32_e32 v10, s5
	v_mov_b32_e32 v11, v2
	;; [unrolled: 1-line block ×4, first 2 shown]
	global_store_dwordx4 v[8:9], v[10:13], off offset:8
.LBB3_1640:
	s_or_b32 exec_lo, exec_lo, s15
	s_lshl_b64 s[10:11], s[10:11], 12
	s_mov_b32 s16, 0
	v_add_co_u32 v6, vcc_lo, v6, s10
	v_add_co_ci_u32_e32 v7, vcc_lo, s11, v7, vcc_lo
	s_mov_b32 s17, s16
	v_readfirstlane_b32 s10, v6
	v_add_co_u32 v6, vcc_lo, v6, v39
	s_mov_b32 s18, s16
	s_mov_b32 s19, s16
	v_and_or_b32 v0, 0xffffff1f, v0, 32
	v_mov_b32_e32 v3, v2
	v_readfirstlane_b32 s11, v7
	v_mov_b32_e32 v10, s16
	v_add_co_ci_u32_e32 v7, vcc_lo, 0, v7, vcc_lo
	v_mov_b32_e32 v11, s17
	v_mov_b32_e32 v12, s18
	;; [unrolled: 1-line block ×3, first 2 shown]
	global_store_dwordx4 v39, v[0:3], s[10:11]
	global_store_dwordx4 v39, v[10:13], s[10:11] offset:16
	global_store_dwordx4 v39, v[10:13], s[10:11] offset:32
	;; [unrolled: 1-line block ×3, first 2 shown]
	s_and_saveexec_b32 s5, s4
	s_cbranch_execz .LBB3_1648
; %bb.1641:
	v_mov_b32_e32 v10, 0
	v_mov_b32_e32 v11, s6
	;; [unrolled: 1-line block ×3, first 2 shown]
	s_clause 0x1
	global_load_dwordx2 v[13:14], v10, s[26:27] offset:32 glc dlc
	global_load_dwordx2 v[0:1], v10, s[26:27] offset:40
	s_waitcnt vmcnt(0)
	v_readfirstlane_b32 s10, v0
	v_readfirstlane_b32 s11, v1
	s_and_b64 s[10:11], s[10:11], s[6:7]
	s_mul_i32 s11, s11, 24
	s_mul_hi_u32 s15, s10, 24
	s_mul_i32 s10, s10, 24
	s_add_i32 s15, s15, s11
	v_add_co_u32 v4, vcc_lo, v4, s10
	v_add_co_ci_u32_e32 v5, vcc_lo, s15, v5, vcc_lo
	s_mov_b32 s10, exec_lo
	global_store_dwordx2 v[4:5], v[13:14], off
	s_waitcnt_vscnt null, 0x0
	global_atomic_cmpswap_x2 v[2:3], v10, v[11:14], s[26:27] offset:32 glc
	s_waitcnt vmcnt(0)
	v_cmpx_ne_u64_e64 v[2:3], v[13:14]
	s_cbranch_execz .LBB3_1644
; %bb.1642:
	s_mov_b32 s11, 0
.LBB3_1643:                             ; =>This Inner Loop Header: Depth=1
	v_mov_b32_e32 v0, s6
	v_mov_b32_e32 v1, s7
	s_sleep 1
	global_store_dwordx2 v[4:5], v[2:3], off
	s_waitcnt_vscnt null, 0x0
	global_atomic_cmpswap_x2 v[0:1], v10, v[0:3], s[26:27] offset:32 glc
	s_waitcnt vmcnt(0)
	v_cmp_eq_u64_e32 vcc_lo, v[0:1], v[2:3]
	v_mov_b32_e32 v3, v1
	v_mov_b32_e32 v2, v0
	s_or_b32 s11, vcc_lo, s11
	s_andn2_b32 exec_lo, exec_lo, s11
	s_cbranch_execnz .LBB3_1643
.LBB3_1644:
	s_or_b32 exec_lo, exec_lo, s10
	v_mov_b32_e32 v3, 0
	s_mov_b32 s11, exec_lo
	s_mov_b32 s10, exec_lo
	v_mbcnt_lo_u32_b32 v2, s11, 0
	global_load_dwordx2 v[0:1], v3, s[26:27] offset:16
	v_cmpx_eq_u32_e32 0, v2
	s_cbranch_execz .LBB3_1646
; %bb.1645:
	s_bcnt1_i32_b32 s11, s11
	v_mov_b32_e32 v2, s11
	s_waitcnt vmcnt(0)
	global_atomic_add_x2 v[0:1], v[2:3], off offset:8
.LBB3_1646:
	s_or_b32 exec_lo, exec_lo, s10
	s_waitcnt vmcnt(0)
	global_load_dwordx2 v[2:3], v[0:1], off offset:16
	s_waitcnt vmcnt(0)
	v_cmp_eq_u64_e32 vcc_lo, 0, v[2:3]
	s_cbranch_vccnz .LBB3_1648
; %bb.1647:
	global_load_dword v0, v[0:1], off offset:24
	v_mov_b32_e32 v1, 0
	s_waitcnt vmcnt(0)
	v_and_b32_e32 v4, 0x7fffff, v0
	s_waitcnt_vscnt null, 0x0
	global_store_dwordx2 v[2:3], v[0:1], off
	v_readfirstlane_b32 m0, v4
	s_sendmsg sendmsg(MSG_INTERRUPT)
.LBB3_1648:
	s_or_b32 exec_lo, exec_lo, s5
	s_branch .LBB3_1652
	.p2align	6
.LBB3_1649:                             ;   in Loop: Header=BB3_1652 Depth=1
	s_or_b32 exec_lo, exec_lo, s5
	v_readfirstlane_b32 s5, v0
	s_cmp_eq_u32 s5, 0
	s_cbranch_scc1 .LBB3_1651
; %bb.1650:                             ;   in Loop: Header=BB3_1652 Depth=1
	s_sleep 1
	s_cbranch_execnz .LBB3_1652
	s_branch .LBB3_1654
	.p2align	6
.LBB3_1651:
	s_branch .LBB3_1654
.LBB3_1652:                             ; =>This Inner Loop Header: Depth=1
	v_mov_b32_e32 v0, 1
	s_and_saveexec_b32 s5, s4
	s_cbranch_execz .LBB3_1649
; %bb.1653:                             ;   in Loop: Header=BB3_1652 Depth=1
	global_load_dword v0, v[8:9], off offset:20 glc dlc
	s_waitcnt vmcnt(0)
	buffer_gl1_inv
	buffer_gl0_inv
	v_and_b32_e32 v0, 1, v0
	s_branch .LBB3_1649
.LBB3_1654:
	global_load_dwordx2 v[2:3], v[6:7], off
	s_and_saveexec_b32 s5, s4
	s_cbranch_execz .LBB3_1658
; %bb.1655:
	v_mov_b32_e32 v8, 0
	s_clause 0x2
	global_load_dwordx2 v[0:1], v8, s[26:27] offset:40
	global_load_dwordx2 v[9:10], v8, s[26:27] offset:24 glc dlc
	global_load_dwordx2 v[6:7], v8, s[26:27]
	s_waitcnt vmcnt(2)
	v_add_co_u32 v11, vcc_lo, v0, 1
	v_add_co_ci_u32_e32 v12, vcc_lo, 0, v1, vcc_lo
	v_add_co_u32 v4, vcc_lo, v11, s6
	v_add_co_ci_u32_e32 v5, vcc_lo, s7, v12, vcc_lo
	v_cmp_eq_u64_e32 vcc_lo, 0, v[4:5]
	v_cndmask_b32_e32 v5, v5, v12, vcc_lo
	v_cndmask_b32_e32 v4, v4, v11, vcc_lo
	v_and_b32_e32 v1, v5, v1
	v_and_b32_e32 v0, v4, v0
	v_mul_lo_u32 v1, v1, 24
	v_mul_hi_u32 v11, v0, 24
	v_mul_lo_u32 v0, v0, 24
	v_add_nc_u32_e32 v1, v11, v1
	s_waitcnt vmcnt(0)
	v_add_co_u32 v0, vcc_lo, v6, v0
	v_mov_b32_e32 v6, v9
	v_add_co_ci_u32_e32 v1, vcc_lo, v7, v1, vcc_lo
	v_mov_b32_e32 v7, v10
	global_store_dwordx2 v[0:1], v[9:10], off
	s_waitcnt_vscnt null, 0x0
	global_atomic_cmpswap_x2 v[6:7], v8, v[4:7], s[26:27] offset:24 glc
	s_waitcnt vmcnt(0)
	v_cmp_ne_u64_e32 vcc_lo, v[6:7], v[9:10]
	s_and_b32 exec_lo, exec_lo, vcc_lo
	s_cbranch_execz .LBB3_1658
; %bb.1656:
	s_mov_b32 s4, 0
.LBB3_1657:                             ; =>This Inner Loop Header: Depth=1
	s_sleep 1
	global_store_dwordx2 v[0:1], v[6:7], off
	s_waitcnt_vscnt null, 0x0
	global_atomic_cmpswap_x2 v[9:10], v8, v[4:7], s[26:27] offset:24 glc
	s_waitcnt vmcnt(0)
	v_cmp_eq_u64_e32 vcc_lo, v[9:10], v[6:7]
	v_mov_b32_e32 v6, v9
	v_mov_b32_e32 v7, v10
	s_or_b32 s4, vcc_lo, s4
	s_andn2_b32 exec_lo, exec_lo, s4
	s_cbranch_execnz .LBB3_1657
.LBB3_1658:
	s_or_b32 exec_lo, exec_lo, s5
.LBB3_1659:
	v_readfirstlane_b32 s4, v50
	s_waitcnt vmcnt(0)
	v_mov_b32_e32 v0, 0
	v_mov_b32_e32 v1, 0
	v_cmp_eq_u32_e64 s4, s4, v50
	s_and_saveexec_b32 s5, s4
	s_cbranch_execz .LBB3_1665
; %bb.1660:
	v_mov_b32_e32 v4, 0
	s_mov_b32 s6, exec_lo
	global_load_dwordx2 v[7:8], v4, s[26:27] offset:24 glc dlc
	s_waitcnt vmcnt(0)
	buffer_gl1_inv
	buffer_gl0_inv
	s_clause 0x1
	global_load_dwordx2 v[0:1], v4, s[26:27] offset:40
	global_load_dwordx2 v[5:6], v4, s[26:27]
	s_waitcnt vmcnt(1)
	v_and_b32_e32 v1, v1, v8
	v_and_b32_e32 v0, v0, v7
	v_mul_lo_u32 v1, v1, 24
	v_mul_hi_u32 v9, v0, 24
	v_mul_lo_u32 v0, v0, 24
	v_add_nc_u32_e32 v1, v9, v1
	s_waitcnt vmcnt(0)
	v_add_co_u32 v0, vcc_lo, v5, v0
	v_add_co_ci_u32_e32 v1, vcc_lo, v6, v1, vcc_lo
	global_load_dwordx2 v[5:6], v[0:1], off glc dlc
	s_waitcnt vmcnt(0)
	global_atomic_cmpswap_x2 v[0:1], v4, v[5:8], s[26:27] offset:24 glc
	s_waitcnt vmcnt(0)
	buffer_gl1_inv
	buffer_gl0_inv
	v_cmpx_ne_u64_e64 v[0:1], v[7:8]
	s_cbranch_execz .LBB3_1664
; %bb.1661:
	s_mov_b32 s7, 0
	.p2align	6
.LBB3_1662:                             ; =>This Inner Loop Header: Depth=1
	s_sleep 1
	s_clause 0x1
	global_load_dwordx2 v[5:6], v4, s[26:27] offset:40
	global_load_dwordx2 v[9:10], v4, s[26:27]
	v_mov_b32_e32 v8, v1
	v_mov_b32_e32 v7, v0
	s_waitcnt vmcnt(1)
	v_and_b32_e32 v0, v5, v7
	v_and_b32_e32 v5, v6, v8
	s_waitcnt vmcnt(0)
	v_mad_u64_u32 v[0:1], null, v0, 24, v[9:10]
	v_mad_u64_u32 v[5:6], null, v5, 24, v[1:2]
	v_mov_b32_e32 v1, v5
	global_load_dwordx2 v[5:6], v[0:1], off glc dlc
	s_waitcnt vmcnt(0)
	global_atomic_cmpswap_x2 v[0:1], v4, v[5:8], s[26:27] offset:24 glc
	s_waitcnt vmcnt(0)
	buffer_gl1_inv
	buffer_gl0_inv
	v_cmp_eq_u64_e32 vcc_lo, v[0:1], v[7:8]
	s_or_b32 s7, vcc_lo, s7
	s_andn2_b32 exec_lo, exec_lo, s7
	s_cbranch_execnz .LBB3_1662
; %bb.1663:
	s_or_b32 exec_lo, exec_lo, s7
.LBB3_1664:
	s_or_b32 exec_lo, exec_lo, s6
.LBB3_1665:
	s_or_b32 exec_lo, exec_lo, s5
	v_mov_b32_e32 v5, 0
	v_readfirstlane_b32 s6, v0
	v_readfirstlane_b32 s7, v1
	s_mov_b32 s5, exec_lo
	s_clause 0x1
	global_load_dwordx2 v[10:11], v5, s[26:27] offset:40
	global_load_dwordx4 v[6:9], v5, s[26:27]
	s_waitcnt vmcnt(1)
	v_readfirstlane_b32 s10, v10
	v_readfirstlane_b32 s11, v11
	s_and_b64 s[10:11], s[6:7], s[10:11]
	s_mul_i32 s15, s11, 24
	s_mul_hi_u32 s16, s10, 24
	s_mul_i32 s17, s10, 24
	s_add_i32 s16, s16, s15
	s_waitcnt vmcnt(0)
	v_add_co_u32 v10, vcc_lo, v6, s17
	v_add_co_ci_u32_e32 v11, vcc_lo, s16, v7, vcc_lo
	s_and_saveexec_b32 s15, s4
	s_cbranch_execz .LBB3_1667
; %bb.1666:
	v_mov_b32_e32 v4, s5
	v_mov_b32_e32 v13, v5
	v_mov_b32_e32 v14, 2
	v_mov_b32_e32 v15, 1
	v_mov_b32_e32 v12, v4
	global_store_dwordx4 v[10:11], v[12:15], off offset:8
.LBB3_1667:
	s_or_b32 exec_lo, exec_lo, s15
	s_lshl_b64 s[10:11], s[10:11], 12
	s_mov_b32 s16, 0
	v_add_co_u32 v0, vcc_lo, v8, s10
	v_add_co_ci_u32_e32 v1, vcc_lo, s11, v9, vcc_lo
	s_mov_b32 s17, s16
	s_mov_b32 s18, s16
	;; [unrolled: 1-line block ×3, first 2 shown]
	v_and_or_b32 v2, 0xffffff1d, v2, 34
	v_mov_b32_e32 v4, 10
	v_readfirstlane_b32 s10, v0
	v_readfirstlane_b32 s11, v1
	v_mov_b32_e32 v12, s16
	v_mov_b32_e32 v13, s17
	;; [unrolled: 1-line block ×4, first 2 shown]
	global_store_dwordx4 v39, v[2:5], s[10:11]
	global_store_dwordx4 v39, v[12:15], s[10:11] offset:16
	global_store_dwordx4 v39, v[12:15], s[10:11] offset:32
	;; [unrolled: 1-line block ×3, first 2 shown]
	s_and_saveexec_b32 s5, s4
	s_cbranch_execz .LBB3_1675
; %bb.1668:
	v_mov_b32_e32 v8, 0
	v_mov_b32_e32 v12, s6
	v_mov_b32_e32 v13, s7
	s_clause 0x1
	global_load_dwordx2 v[14:15], v8, s[26:27] offset:32 glc dlc
	global_load_dwordx2 v[0:1], v8, s[26:27] offset:40
	s_waitcnt vmcnt(0)
	v_readfirstlane_b32 s10, v0
	v_readfirstlane_b32 s11, v1
	s_and_b64 s[10:11], s[10:11], s[6:7]
	s_mul_i32 s11, s11, 24
	s_mul_hi_u32 s15, s10, 24
	s_mul_i32 s10, s10, 24
	s_add_i32 s15, s15, s11
	v_add_co_u32 v4, vcc_lo, v6, s10
	v_add_co_ci_u32_e32 v5, vcc_lo, s15, v7, vcc_lo
	s_mov_b32 s10, exec_lo
	global_store_dwordx2 v[4:5], v[14:15], off
	s_waitcnt_vscnt null, 0x0
	global_atomic_cmpswap_x2 v[2:3], v8, v[12:15], s[26:27] offset:32 glc
	s_waitcnt vmcnt(0)
	v_cmpx_ne_u64_e64 v[2:3], v[14:15]
	s_cbranch_execz .LBB3_1671
; %bb.1669:
	s_mov_b32 s11, 0
.LBB3_1670:                             ; =>This Inner Loop Header: Depth=1
	v_mov_b32_e32 v0, s6
	v_mov_b32_e32 v1, s7
	s_sleep 1
	global_store_dwordx2 v[4:5], v[2:3], off
	s_waitcnt_vscnt null, 0x0
	global_atomic_cmpswap_x2 v[0:1], v8, v[0:3], s[26:27] offset:32 glc
	s_waitcnt vmcnt(0)
	v_cmp_eq_u64_e32 vcc_lo, v[0:1], v[2:3]
	v_mov_b32_e32 v3, v1
	v_mov_b32_e32 v2, v0
	s_or_b32 s11, vcc_lo, s11
	s_andn2_b32 exec_lo, exec_lo, s11
	s_cbranch_execnz .LBB3_1670
.LBB3_1671:
	s_or_b32 exec_lo, exec_lo, s10
	v_mov_b32_e32 v3, 0
	s_mov_b32 s11, exec_lo
	s_mov_b32 s10, exec_lo
	v_mbcnt_lo_u32_b32 v2, s11, 0
	global_load_dwordx2 v[0:1], v3, s[26:27] offset:16
	v_cmpx_eq_u32_e32 0, v2
	s_cbranch_execz .LBB3_1673
; %bb.1672:
	s_bcnt1_i32_b32 s11, s11
	v_mov_b32_e32 v2, s11
	s_waitcnt vmcnt(0)
	global_atomic_add_x2 v[0:1], v[2:3], off offset:8
.LBB3_1673:
	s_or_b32 exec_lo, exec_lo, s10
	s_waitcnt vmcnt(0)
	global_load_dwordx2 v[2:3], v[0:1], off offset:16
	s_waitcnt vmcnt(0)
	v_cmp_eq_u64_e32 vcc_lo, 0, v[2:3]
	s_cbranch_vccnz .LBB3_1675
; %bb.1674:
	global_load_dword v0, v[0:1], off offset:24
	v_mov_b32_e32 v1, 0
	s_waitcnt vmcnt(0)
	v_and_b32_e32 v4, 0x7fffff, v0
	s_waitcnt_vscnt null, 0x0
	global_store_dwordx2 v[2:3], v[0:1], off
	v_readfirstlane_b32 m0, v4
	s_sendmsg sendmsg(MSG_INTERRUPT)
.LBB3_1675:
	s_or_b32 exec_lo, exec_lo, s5
	s_branch .LBB3_1679
	.p2align	6
.LBB3_1676:                             ;   in Loop: Header=BB3_1679 Depth=1
	s_or_b32 exec_lo, exec_lo, s5
	v_readfirstlane_b32 s5, v0
	s_cmp_eq_u32 s5, 0
	s_cbranch_scc1 .LBB3_1678
; %bb.1677:                             ;   in Loop: Header=BB3_1679 Depth=1
	s_sleep 1
	s_cbranch_execnz .LBB3_1679
	s_branch .LBB3_1681
	.p2align	6
.LBB3_1678:
	s_branch .LBB3_1681
.LBB3_1679:                             ; =>This Inner Loop Header: Depth=1
	v_mov_b32_e32 v0, 1
	s_and_saveexec_b32 s5, s4
	s_cbranch_execz .LBB3_1676
; %bb.1680:                             ;   in Loop: Header=BB3_1679 Depth=1
	global_load_dword v0, v[10:11], off offset:20 glc dlc
	s_waitcnt vmcnt(0)
	buffer_gl1_inv
	buffer_gl0_inv
	v_and_b32_e32 v0, 1, v0
	s_branch .LBB3_1676
.LBB3_1681:
	s_and_saveexec_b32 s5, s4
	s_cbranch_execz .LBB3_1685
; %bb.1682:
	v_mov_b32_e32 v6, 0
	s_clause 0x2
	global_load_dwordx2 v[2:3], v6, s[26:27] offset:40
	global_load_dwordx2 v[7:8], v6, s[26:27] offset:24 glc dlc
	global_load_dwordx2 v[4:5], v6, s[26:27]
	s_waitcnt vmcnt(2)
	v_add_co_u32 v9, vcc_lo, v2, 1
	v_add_co_ci_u32_e32 v10, vcc_lo, 0, v3, vcc_lo
	v_add_co_u32 v0, vcc_lo, v9, s6
	v_add_co_ci_u32_e32 v1, vcc_lo, s7, v10, vcc_lo
	v_cmp_eq_u64_e32 vcc_lo, 0, v[0:1]
	v_cndmask_b32_e32 v1, v1, v10, vcc_lo
	v_cndmask_b32_e32 v0, v0, v9, vcc_lo
	v_and_b32_e32 v3, v1, v3
	v_and_b32_e32 v2, v0, v2
	v_mul_lo_u32 v3, v3, 24
	v_mul_hi_u32 v9, v2, 24
	v_mul_lo_u32 v2, v2, 24
	v_add_nc_u32_e32 v3, v9, v3
	s_waitcnt vmcnt(0)
	v_add_co_u32 v4, vcc_lo, v4, v2
	v_mov_b32_e32 v2, v7
	v_add_co_ci_u32_e32 v5, vcc_lo, v5, v3, vcc_lo
	v_mov_b32_e32 v3, v8
	global_store_dwordx2 v[4:5], v[7:8], off
	s_waitcnt_vscnt null, 0x0
	global_atomic_cmpswap_x2 v[2:3], v6, v[0:3], s[26:27] offset:24 glc
	s_waitcnt vmcnt(0)
	v_cmp_ne_u64_e32 vcc_lo, v[2:3], v[7:8]
	s_and_b32 exec_lo, exec_lo, vcc_lo
	s_cbranch_execz .LBB3_1685
; %bb.1683:
	s_mov_b32 s4, 0
.LBB3_1684:                             ; =>This Inner Loop Header: Depth=1
	s_sleep 1
	global_store_dwordx2 v[4:5], v[2:3], off
	s_waitcnt_vscnt null, 0x0
	global_atomic_cmpswap_x2 v[7:8], v6, v[0:3], s[26:27] offset:24 glc
	s_waitcnt vmcnt(0)
	v_cmp_eq_u64_e32 vcc_lo, v[7:8], v[2:3]
	v_mov_b32_e32 v2, v7
	v_mov_b32_e32 v3, v8
	s_or_b32 s4, vcc_lo, s4
	s_andn2_b32 exec_lo, exec_lo, s4
	s_cbranch_execnz .LBB3_1684
.LBB3_1685:
	s_or_b32 exec_lo, exec_lo, s5
	flat_load_dwordx2 v[0:1], v[36:37]
	s_waitcnt vmcnt(0) lgkmcnt(0)
	flat_load_dword v2, v[0:1]
	s_waitcnt vmcnt(0) lgkmcnt(0)
	v_add_nc_u32_e32 v2, 1, v2
	flat_store_dword v[0:1], v2
.LBB3_1686:
	s_or_b32 exec_lo, exec_lo, s34
	s_getpc_b64 s[4:5]
	s_add_u32 s4, s4, _ZN8migraphx4test4failEv@rel32@lo+4
	s_addc_u32 s5, s5, _ZN8migraphx4test4failEv@rel32@hi+12
	s_swappc_b64 s[30:31], s[4:5]
	; divergent unreachable
.LBB3_1687:
	s_andn2_saveexec_b32 s4, s28
	s_or_b32 exec_lo, exec_lo, s4
	v_readlane_b32 s30, v40, 0
	v_readlane_b32 s31, v40, 1
	;; [unrolled: 1-line block ×3, first 2 shown]
	s_or_saveexec_b32 s5, -1
	buffer_load_dword v40, off, s[0:3], s33 offset:36 ; 4-byte Folded Reload
	s_mov_b32 exec_lo, s5
	s_addk_i32 s32, 0xfa00
	s_mov_b32 s33, s4
	s_waitcnt vmcnt(0)
	s_setpc_b64 s[30:31]
.Lfunc_end3:
	.size	_ZL37search_pattern_appears_multiple_timesRN8migraphx4test12test_managerE, .Lfunc_end3-_ZL37search_pattern_appears_multiple_timesRN8migraphx4test12test_managerE
                                        ; -- End function
	.section	.AMDGPU.csdata,"",@progbits
; Function info:
; codeLenInByte = 60876
; NumSgprs: 46
; NumVgprs: 51
; ScratchSize: 48
; MemoryBound: 0
	.text
	.p2align	2                               ; -- Begin function _ZL26search_stress_long_patternRN8migraphx4test12test_managerE
	.type	_ZL26search_stress_long_patternRN8migraphx4test12test_managerE,@function
_ZL26search_stress_long_patternRN8migraphx4test12test_managerE: ; @_ZL26search_stress_long_patternRN8migraphx4test12test_managerE
; %bb.0:
	s_waitcnt vmcnt(0) expcnt(0) lgkmcnt(0)
	s_mov_b32 s4, s33
	s_mov_b32 s33, s32
	s_or_saveexec_b32 s5, -1
	buffer_store_dword v40, off, s[0:3], s33 offset:60 ; 4-byte Folded Spill
	s_mov_b32 exec_lo, s5
	v_writelane_b32 v40, s4, 2
	v_writelane_b32 v40, s30, 0
	s_addk_i32 s32, 0xa00
	v_writelane_b32 v40, s31, 1
	v_mov_b32_e32 v36, v0
	v_mov_b32_e32 v2, 1
	;; [unrolled: 1-line block ×5, first 2 shown]
	v_lshrrev_b32_e64 v3, 5, s33
	buffer_store_dword v2, off, s[0:3], s33
	buffer_store_dword v2, off, s[0:3], s33 offset:4
	buffer_store_dword v2, off, s[0:3], s33 offset:8
	;; [unrolled: 1-line block ×6, first 2 shown]
	v_mov_b32_e32 v0, 4
	v_mov_b32_e32 v1, 5
	v_add_nc_u32_e32 v38, 20, v3
	v_mov_b32_e32 v3, 6
	v_mov_b32_e32 v4, 7
	;; [unrolled: 1-line block ×3, first 2 shown]
	buffer_store_dword v0, off, s[0:3], s33 offset:28
	buffer_store_dword v1, off, s[0:3], s33 offset:32
	;; [unrolled: 1-line block ×6, first 2 shown]
	v_lshrrev_b32_e64 v1, 5, s33
	s_mov_b64 s[4:5], src_private_base
	s_mov_b32 s4, 0
	s_mov_b32 s6, 0
	buffer_store_dword v2, off, s[0:3], s33 offset:52
	v_add_nc_u32_e32 v0, 60, v1
	v_mov_b32_e32 v1, s5
	buffer_store_dword v2, off, s[0:3], s33 offset:56
                                        ; implicit-def: $sgpr10
                                        ; implicit-def: $vgpr2_vgpr3
	s_branch .LBB4_12
.LBB4_1:                                ;   in Loop: Header=BB4_12 Depth=1
	v_mov_b32_e32 v2, v4
	v_mov_b32_e32 v3, v5
	s_orn2_b32 s17, s17, exec_lo
.LBB4_2:                                ;   in Loop: Header=BB4_12 Depth=1
	s_or_b32 exec_lo, exec_lo, s16
	v_mov_b32_e32 v5, v3
	v_mov_b32_e32 v4, v2
.LBB4_3:                                ;   in Loop: Header=BB4_12 Depth=1
	v_mov_b32_e32 v2, v4
	v_mov_b32_e32 v3, v5
	s_orn2_b32 s16, s17, exec_lo
.LBB4_4:                                ;   in Loop: Header=BB4_12 Depth=1
	s_or_b32 exec_lo, exec_lo, s15
	v_mov_b32_e32 v5, v3
	v_mov_b32_e32 v4, v2
.LBB4_5:                                ;   in Loop: Header=BB4_12 Depth=1
	v_mov_b32_e32 v2, v4
	v_mov_b32_e32 v3, v5
	s_orn2_b32 s15, s16, exec_lo
.LBB4_6:                                ;   in Loop: Header=BB4_12 Depth=1
	s_or_b32 exec_lo, exec_lo, s11
	v_mov_b32_e32 v5, v3
	v_mov_b32_e32 v4, v2
.LBB4_7:                                ;   in Loop: Header=BB4_12 Depth=1
	v_mov_b32_e32 v2, v4
	v_mov_b32_e32 v3, v5
	s_orn2_b32 s11, s15, exec_lo
.LBB4_8:                                ;   in Loop: Header=BB4_12 Depth=1
	s_or_b32 exec_lo, exec_lo, s10
	v_mov_b32_e32 v5, v3
	v_mov_b32_e32 v4, v2
.LBB4_9:                                ;   in Loop: Header=BB4_12 Depth=1
	v_mov_b32_e32 v2, v4
	v_mov_b32_e32 v3, v5
	s_orn2_b32 s10, s11, exec_lo
.LBB4_10:                               ;   in Loop: Header=BB4_12 Depth=1
	s_or_b32 exec_lo, exec_lo, s7
	v_mov_b32_e32 v49, v3
	v_mov_b32_e32 v48, v2
.LBB4_11:                               ;   in Loop: Header=BB4_12 Depth=1
	s_xor_b32 s7, s10, -1
	v_mov_b32_e32 v2, v48
	s_add_i32 s6, s6, 4
	v_mov_b32_e32 v3, v49
	s_and_b32 s7, exec_lo, s7
	s_or_b32 s4, s7, s4
	s_andn2_b32 exec_lo, exec_lo, s4
	s_cbranch_execz .LBB4_24
.LBB4_12:                               ; =>This Inner Loop Header: Depth=1
	v_mov_b32_e32 v49, v1
	v_mov_b32_e32 v48, v0
	s_andn2_b32 s10, s10, exec_lo
	s_cmp_eq_u32 s6, 60
	s_cbranch_scc1 .LBB4_11
; %bb.13:                               ;   in Loop: Header=BB4_12 Depth=1
	v_lshrrev_b32_e64 v4, 5, s33
	s_mov_b32 s10, -1
	s_mov_b32 s7, exec_lo
	v_add_nc_u32_e32 v6, s6, v4
	buffer_load_dword v4, v6, s[0:3], 0 offen
	s_waitcnt vmcnt(0)
	v_cmpx_eq_u32_e32 2, v4
	s_cbranch_execz .LBB4_10
; %bb.14:                               ;   in Loop: Header=BB4_12 Depth=1
	v_mov_b32_e32 v5, v1
	v_mov_b32_e32 v4, v0
	s_cmp_eq_u32 s6, 56
	s_mov_b32 s11, 0
	s_cbranch_scc1 .LBB4_9
; %bb.15:                               ;   in Loop: Header=BB4_12 Depth=1
	buffer_load_dword v4, v6, s[0:3], 0 offen offset:4
	s_mov_b32 s11, -1
	s_mov_b32 s10, exec_lo
	s_waitcnt vmcnt(0)
	v_cmpx_eq_u32_e32 3, v4
	s_cbranch_execz .LBB4_8
; %bb.16:                               ;   in Loop: Header=BB4_12 Depth=1
	v_mov_b32_e32 v5, v1
	v_mov_b32_e32 v4, v0
	s_cmp_eq_u32 s6, 52
	s_mov_b32 s15, 0
	s_cbranch_scc1 .LBB4_7
; %bb.17:                               ;   in Loop: Header=BB4_12 Depth=1
	buffer_load_dword v4, v6, s[0:3], 0 offen offset:8
	s_mov_b32 s15, -1
	s_mov_b32 s11, exec_lo
	;; [unrolled: 13-line block ×4, first 2 shown]
	s_waitcnt vmcnt(0)
	v_cmpx_eq_u32_e32 6, v4
	s_cbranch_execz .LBB4_2
; %bb.22:                               ;   in Loop: Header=BB4_12 Depth=1
	v_mov_b32_e32 v5, v1
	v_mov_b32_e32 v4, v0
	s_cmp_eq_u32 s6, 40
	s_mov_b32 s17, 0
	s_cbranch_scc1 .LBB4_1
; %bb.23:                               ;   in Loop: Header=BB4_12 Depth=1
	buffer_load_dword v4, v6, s[0:3], 0 offen offset:20
	s_waitcnt vmcnt(0)
	v_cmp_ne_u32_e32 vcc_lo, 7, v4
	v_cndmask_b32_e32 v5, s5, v3, vcc_lo
	v_cndmask_b32_e32 v4, v6, v2, vcc_lo
	s_and_b32 s17, vcc_lo, exec_lo
	s_branch .LBB4_1
.LBB4_24:
	s_or_b32 exec_lo, exec_lo, s4
	s_mov_b64 s[28:29], src_private_base
	s_mov_b32 s4, exec_lo
	v_mov_b32_e32 v39, s29
	v_cmpx_ne_u64_e64 v[48:49], v[38:39]
	s_xor_b32 s28, exec_lo, s4
	s_cbranch_execz .LBB4_1703
; %bb.25:
	v_and_b32_e32 v0, 0x3ff, v31
	s_mov_b32 s34, exec_lo
	v_cmpx_eq_u32_e32 0, v0
	s_cbranch_execz .LBB4_1702
; %bb.26:
	s_load_dwordx2 s[26:27], s[8:9], 0x50
	v_mbcnt_lo_u32_b32 v50, -1, 0
	v_mov_b32_e32 v6, 0
	v_mov_b32_e32 v7, 0
	v_readfirstlane_b32 s4, v50
	v_cmp_eq_u32_e64 s4, s4, v50
	s_and_saveexec_b32 s5, s4
	s_cbranch_execz .LBB4_32
; %bb.27:
	v_mov_b32_e32 v0, 0
	s_mov_b32 s6, exec_lo
	s_waitcnt lgkmcnt(0)
	global_load_dwordx2 v[3:4], v0, s[26:27] offset:24 glc dlc
	s_waitcnt vmcnt(0)
	buffer_gl1_inv
	buffer_gl0_inv
	s_clause 0x1
	global_load_dwordx2 v[1:2], v0, s[26:27] offset:40
	global_load_dwordx2 v[5:6], v0, s[26:27]
	s_waitcnt vmcnt(1)
	v_and_b32_e32 v2, v2, v4
	v_and_b32_e32 v1, v1, v3
	v_mul_lo_u32 v2, v2, 24
	v_mul_hi_u32 v7, v1, 24
	v_mul_lo_u32 v1, v1, 24
	v_add_nc_u32_e32 v2, v7, v2
	s_waitcnt vmcnt(0)
	v_add_co_u32 v1, vcc_lo, v5, v1
	v_add_co_ci_u32_e32 v2, vcc_lo, v6, v2, vcc_lo
	global_load_dwordx2 v[1:2], v[1:2], off glc dlc
	s_waitcnt vmcnt(0)
	global_atomic_cmpswap_x2 v[6:7], v0, v[1:4], s[26:27] offset:24 glc
	s_waitcnt vmcnt(0)
	buffer_gl1_inv
	buffer_gl0_inv
	v_cmpx_ne_u64_e64 v[6:7], v[3:4]
	s_cbranch_execz .LBB4_31
; %bb.28:
	s_mov_b32 s7, 0
	.p2align	6
.LBB4_29:                               ; =>This Inner Loop Header: Depth=1
	s_sleep 1
	s_clause 0x1
	global_load_dwordx2 v[1:2], v0, s[26:27] offset:40
	global_load_dwordx2 v[8:9], v0, s[26:27]
	v_mov_b32_e32 v3, v6
	v_mov_b32_e32 v4, v7
	s_waitcnt vmcnt(1)
	v_and_b32_e32 v1, v1, v3
	v_and_b32_e32 v2, v2, v4
	s_waitcnt vmcnt(0)
	v_mad_u64_u32 v[5:6], null, v1, 24, v[8:9]
	v_mov_b32_e32 v1, v6
	v_mad_u64_u32 v[1:2], null, v2, 24, v[1:2]
	v_mov_b32_e32 v6, v1
	global_load_dwordx2 v[1:2], v[5:6], off glc dlc
	s_waitcnt vmcnt(0)
	global_atomic_cmpswap_x2 v[6:7], v0, v[1:4], s[26:27] offset:24 glc
	s_waitcnt vmcnt(0)
	buffer_gl1_inv
	buffer_gl0_inv
	v_cmp_eq_u64_e32 vcc_lo, v[6:7], v[3:4]
	s_or_b32 s7, vcc_lo, s7
	s_andn2_b32 exec_lo, exec_lo, s7
	s_cbranch_execnz .LBB4_29
; %bb.30:
	s_or_b32 exec_lo, exec_lo, s7
.LBB4_31:
	s_or_b32 exec_lo, exec_lo, s6
.LBB4_32:
	s_or_b32 exec_lo, exec_lo, s5
	v_mov_b32_e32 v5, 0
	v_readfirstlane_b32 s6, v6
	v_readfirstlane_b32 s7, v7
	s_mov_b32 s5, exec_lo
	s_waitcnt lgkmcnt(0)
	s_clause 0x1
	global_load_dwordx2 v[8:9], v5, s[26:27] offset:40
	global_load_dwordx4 v[0:3], v5, s[26:27]
	s_waitcnt vmcnt(1)
	v_readfirstlane_b32 s10, v8
	v_readfirstlane_b32 s11, v9
	s_and_b64 s[10:11], s[6:7], s[10:11]
	s_mul_i32 s15, s11, 24
	s_mul_hi_u32 s16, s10, 24
	s_mul_i32 s17, s10, 24
	s_add_i32 s16, s16, s15
	s_waitcnt vmcnt(0)
	v_add_co_u32 v8, vcc_lo, v0, s17
	v_add_co_ci_u32_e32 v9, vcc_lo, s16, v1, vcc_lo
	s_and_saveexec_b32 s15, s4
	s_cbranch_execz .LBB4_34
; %bb.33:
	v_mov_b32_e32 v4, s5
	v_mov_b32_e32 v6, 2
	;; [unrolled: 1-line block ×3, first 2 shown]
	global_store_dwordx4 v[8:9], v[4:7], off offset:8
.LBB4_34:
	s_or_b32 exec_lo, exec_lo, s15
	s_lshl_b64 s[10:11], s[10:11], 12
	v_lshlrev_b32_e32 v39, 6, v50
	v_add_co_u32 v2, vcc_lo, v2, s10
	v_add_co_ci_u32_e32 v3, vcc_lo, s11, v3, vcc_lo
	s_mov_b32 s16, 0
	v_add_co_u32 v10, vcc_lo, v2, v39
	s_mov_b32 s17, s16
	s_mov_b32 s18, s16
	;; [unrolled: 1-line block ×3, first 2 shown]
	v_mov_b32_e32 v4, 33
	v_mov_b32_e32 v6, v5
	;; [unrolled: 1-line block ×3, first 2 shown]
	v_readfirstlane_b32 s10, v2
	v_readfirstlane_b32 s11, v3
	v_mov_b32_e32 v12, s16
	v_add_co_ci_u32_e32 v11, vcc_lo, 0, v3, vcc_lo
	v_mov_b32_e32 v13, s17
	v_mov_b32_e32 v14, s18
	;; [unrolled: 1-line block ×3, first 2 shown]
	global_store_dwordx4 v39, v[4:7], s[10:11]
	global_store_dwordx4 v39, v[12:15], s[10:11] offset:16
	global_store_dwordx4 v39, v[12:15], s[10:11] offset:32
	;; [unrolled: 1-line block ×3, first 2 shown]
	s_and_saveexec_b32 s5, s4
	s_cbranch_execz .LBB4_42
; %bb.35:
	v_mov_b32_e32 v6, 0
	v_mov_b32_e32 v12, s6
	;; [unrolled: 1-line block ×3, first 2 shown]
	s_mov_b32 s10, exec_lo
	s_clause 0x1
	global_load_dwordx2 v[14:15], v6, s[26:27] offset:32 glc dlc
	global_load_dwordx2 v[2:3], v6, s[26:27] offset:40
	s_waitcnt vmcnt(0)
	v_and_b32_e32 v3, s7, v3
	v_and_b32_e32 v2, s6, v2
	v_mul_lo_u32 v3, v3, 24
	v_mul_hi_u32 v4, v2, 24
	v_mul_lo_u32 v2, v2, 24
	v_add_nc_u32_e32 v3, v4, v3
	v_add_co_u32 v4, vcc_lo, v0, v2
	v_add_co_ci_u32_e32 v5, vcc_lo, v1, v3, vcc_lo
	global_store_dwordx2 v[4:5], v[14:15], off
	s_waitcnt_vscnt null, 0x0
	global_atomic_cmpswap_x2 v[2:3], v6, v[12:15], s[26:27] offset:32 glc
	s_waitcnt vmcnt(0)
	v_cmpx_ne_u64_e64 v[2:3], v[14:15]
	s_cbranch_execz .LBB4_38
; %bb.36:
	s_mov_b32 s11, 0
.LBB4_37:                               ; =>This Inner Loop Header: Depth=1
	v_mov_b32_e32 v0, s6
	v_mov_b32_e32 v1, s7
	s_sleep 1
	global_store_dwordx2 v[4:5], v[2:3], off
	s_waitcnt_vscnt null, 0x0
	global_atomic_cmpswap_x2 v[0:1], v6, v[0:3], s[26:27] offset:32 glc
	s_waitcnt vmcnt(0)
	v_cmp_eq_u64_e32 vcc_lo, v[0:1], v[2:3]
	v_mov_b32_e32 v3, v1
	v_mov_b32_e32 v2, v0
	s_or_b32 s11, vcc_lo, s11
	s_andn2_b32 exec_lo, exec_lo, s11
	s_cbranch_execnz .LBB4_37
.LBB4_38:
	s_or_b32 exec_lo, exec_lo, s10
	v_mov_b32_e32 v3, 0
	s_mov_b32 s11, exec_lo
	s_mov_b32 s10, exec_lo
	v_mbcnt_lo_u32_b32 v2, s11, 0
	global_load_dwordx2 v[0:1], v3, s[26:27] offset:16
	v_cmpx_eq_u32_e32 0, v2
	s_cbranch_execz .LBB4_40
; %bb.39:
	s_bcnt1_i32_b32 s11, s11
	v_mov_b32_e32 v2, s11
	s_waitcnt vmcnt(0)
	global_atomic_add_x2 v[0:1], v[2:3], off offset:8
.LBB4_40:
	s_or_b32 exec_lo, exec_lo, s10
	s_waitcnt vmcnt(0)
	global_load_dwordx2 v[2:3], v[0:1], off offset:16
	s_waitcnt vmcnt(0)
	v_cmp_eq_u64_e32 vcc_lo, 0, v[2:3]
	s_cbranch_vccnz .LBB4_42
; %bb.41:
	global_load_dword v0, v[0:1], off offset:24
	v_mov_b32_e32 v1, 0
	s_waitcnt vmcnt(0)
	v_and_b32_e32 v4, 0x7fffff, v0
	s_waitcnt_vscnt null, 0x0
	global_store_dwordx2 v[2:3], v[0:1], off
	v_readfirstlane_b32 m0, v4
	s_sendmsg sendmsg(MSG_INTERRUPT)
.LBB4_42:
	s_or_b32 exec_lo, exec_lo, s5
	s_branch .LBB4_46
	.p2align	6
.LBB4_43:                               ;   in Loop: Header=BB4_46 Depth=1
	s_or_b32 exec_lo, exec_lo, s5
	v_readfirstlane_b32 s5, v0
	s_cmp_eq_u32 s5, 0
	s_cbranch_scc1 .LBB4_45
; %bb.44:                               ;   in Loop: Header=BB4_46 Depth=1
	s_sleep 1
	s_cbranch_execnz .LBB4_46
	s_branch .LBB4_48
	.p2align	6
.LBB4_45:
	s_branch .LBB4_48
.LBB4_46:                               ; =>This Inner Loop Header: Depth=1
	v_mov_b32_e32 v0, 1
	s_and_saveexec_b32 s5, s4
	s_cbranch_execz .LBB4_43
; %bb.47:                               ;   in Loop: Header=BB4_46 Depth=1
	global_load_dword v0, v[8:9], off offset:20 glc dlc
	s_waitcnt vmcnt(0)
	buffer_gl1_inv
	buffer_gl0_inv
	v_and_b32_e32 v0, 1, v0
	s_branch .LBB4_43
.LBB4_48:
	global_load_dwordx2 v[4:5], v[10:11], off
	s_and_saveexec_b32 s5, s4
	s_cbranch_execz .LBB4_52
; %bb.49:
	v_mov_b32_e32 v8, 0
	s_clause 0x2
	global_load_dwordx2 v[2:3], v8, s[26:27] offset:40
	global_load_dwordx2 v[9:10], v8, s[26:27] offset:24 glc dlc
	global_load_dwordx2 v[6:7], v8, s[26:27]
	s_waitcnt vmcnt(2)
	v_add_co_u32 v11, vcc_lo, v2, 1
	v_add_co_ci_u32_e32 v12, vcc_lo, 0, v3, vcc_lo
	v_add_co_u32 v0, vcc_lo, v11, s6
	v_add_co_ci_u32_e32 v1, vcc_lo, s7, v12, vcc_lo
	v_cmp_eq_u64_e32 vcc_lo, 0, v[0:1]
	v_cndmask_b32_e32 v1, v1, v12, vcc_lo
	v_cndmask_b32_e32 v0, v0, v11, vcc_lo
	v_and_b32_e32 v3, v1, v3
	v_and_b32_e32 v2, v0, v2
	v_mul_lo_u32 v3, v3, 24
	v_mul_hi_u32 v11, v2, 24
	v_mul_lo_u32 v2, v2, 24
	v_add_nc_u32_e32 v3, v11, v3
	s_waitcnt vmcnt(0)
	v_add_co_u32 v6, vcc_lo, v6, v2
	v_mov_b32_e32 v2, v9
	v_add_co_ci_u32_e32 v7, vcc_lo, v7, v3, vcc_lo
	v_mov_b32_e32 v3, v10
	global_store_dwordx2 v[6:7], v[9:10], off
	s_waitcnt_vscnt null, 0x0
	global_atomic_cmpswap_x2 v[2:3], v8, v[0:3], s[26:27] offset:24 glc
	s_waitcnt vmcnt(0)
	v_cmp_ne_u64_e32 vcc_lo, v[2:3], v[9:10]
	s_and_b32 exec_lo, exec_lo, vcc_lo
	s_cbranch_execz .LBB4_52
; %bb.50:
	s_mov_b32 s4, 0
.LBB4_51:                               ; =>This Inner Loop Header: Depth=1
	s_sleep 1
	global_store_dwordx2 v[6:7], v[2:3], off
	s_waitcnt_vscnt null, 0x0
	global_atomic_cmpswap_x2 v[9:10], v8, v[0:3], s[26:27] offset:24 glc
	s_waitcnt vmcnt(0)
	v_cmp_eq_u64_e32 vcc_lo, v[9:10], v[2:3]
	v_mov_b32_e32 v2, v9
	v_mov_b32_e32 v3, v10
	s_or_b32 s4, vcc_lo, s4
	s_andn2_b32 exec_lo, exec_lo, s4
	s_cbranch_execnz .LBB4_51
.LBB4_52:
	s_or_b32 exec_lo, exec_lo, s5
	s_getpc_b64 s[6:7]
	s_add_u32 s6, s6, .str.5@rel32@lo+4
	s_addc_u32 s7, s7, .str.5@rel32@hi+12
	s_cmp_lg_u64 s[6:7], 0
	s_cselect_b32 s15, -1, 0
	s_and_b32 vcc_lo, exec_lo, s15
	s_cbranch_vccz .LBB4_131
; %bb.53:
	s_waitcnt vmcnt(0)
	v_and_b32_e32 v28, 2, v4
	v_mov_b32_e32 v7, 0
	v_and_b32_e32 v0, -3, v4
	v_mov_b32_e32 v1, v5
	v_mov_b32_e32 v8, 2
	;; [unrolled: 1-line block ×3, first 2 shown]
	s_mov_b64 s[10:11], 3
	s_branch .LBB4_55
.LBB4_54:                               ;   in Loop: Header=BB4_55 Depth=1
	s_or_b32 exec_lo, exec_lo, s5
	s_sub_u32 s10, s10, s16
	s_subb_u32 s11, s11, s17
	s_add_u32 s6, s6, s16
	s_addc_u32 s7, s7, s17
	s_cmp_lg_u64 s[10:11], 0
	s_cbranch_scc0 .LBB4_130
.LBB4_55:                               ; =>This Loop Header: Depth=1
                                        ;     Child Loop BB4_64 Depth 2
                                        ;     Child Loop BB4_60 Depth 2
	;; [unrolled: 1-line block ×11, first 2 shown]
	v_cmp_lt_u64_e64 s4, s[10:11], 56
	v_cmp_gt_u64_e64 s5, s[10:11], 7
                                        ; implicit-def: $vgpr2_vgpr3
                                        ; implicit-def: $sgpr22
	s_and_b32 s4, s4, exec_lo
	s_cselect_b32 s17, s11, 0
	s_cselect_b32 s16, s10, 56
	s_and_b32 vcc_lo, exec_lo, s5
	s_mov_b32 s4, -1
	s_cbranch_vccz .LBB4_62
; %bb.56:                               ;   in Loop: Header=BB4_55 Depth=1
	s_andn2_b32 vcc_lo, exec_lo, s4
	s_mov_b64 s[4:5], s[6:7]
	s_cbranch_vccz .LBB4_66
.LBB4_57:                               ;   in Loop: Header=BB4_55 Depth=1
	s_cmp_gt_u32 s22, 7
	s_cbranch_scc1 .LBB4_67
.LBB4_58:                               ;   in Loop: Header=BB4_55 Depth=1
	v_mov_b32_e32 v10, 0
	v_mov_b32_e32 v11, 0
	s_cmp_eq_u32 s22, 0
	s_cbranch_scc1 .LBB4_61
; %bb.59:                               ;   in Loop: Header=BB4_55 Depth=1
	s_mov_b64 s[18:19], 0
	s_mov_b64 s[20:21], 0
.LBB4_60:                               ;   Parent Loop BB4_55 Depth=1
                                        ; =>  This Inner Loop Header: Depth=2
	s_add_u32 s24, s4, s20
	s_addc_u32 s25, s5, s21
	s_add_u32 s20, s20, 1
	global_load_ubyte v6, v7, s[24:25]
	s_addc_u32 s21, s21, 0
	s_waitcnt vmcnt(0)
	v_and_b32_e32 v6, 0xffff, v6
	v_lshlrev_b64 v[12:13], s18, v[6:7]
	s_add_u32 s18, s18, 8
	s_addc_u32 s19, s19, 0
	s_cmp_lg_u32 s22, s20
	v_or_b32_e32 v10, v12, v10
	v_or_b32_e32 v11, v13, v11
	s_cbranch_scc1 .LBB4_60
.LBB4_61:                               ;   in Loop: Header=BB4_55 Depth=1
	s_mov_b32 s23, 0
	s_cbranch_execz .LBB4_68
	s_branch .LBB4_69
.LBB4_62:                               ;   in Loop: Header=BB4_55 Depth=1
	s_waitcnt vmcnt(0)
	v_mov_b32_e32 v2, 0
	v_mov_b32_e32 v3, 0
	s_cmp_eq_u64 s[10:11], 0
	s_mov_b64 s[4:5], 0
	s_cbranch_scc1 .LBB4_65
; %bb.63:                               ;   in Loop: Header=BB4_55 Depth=1
	v_mov_b32_e32 v2, 0
	v_mov_b32_e32 v3, 0
	s_lshl_b64 s[18:19], s[16:17], 3
	s_mov_b64 s[20:21], s[6:7]
.LBB4_64:                               ;   Parent Loop BB4_55 Depth=1
                                        ; =>  This Inner Loop Header: Depth=2
	global_load_ubyte v6, v7, s[20:21]
	s_waitcnt vmcnt(0)
	v_and_b32_e32 v6, 0xffff, v6
	v_lshlrev_b64 v[10:11], s4, v[6:7]
	s_add_u32 s4, s4, 8
	s_addc_u32 s5, s5, 0
	s_add_u32 s20, s20, 1
	s_addc_u32 s21, s21, 0
	s_cmp_lg_u32 s18, s4
	v_or_b32_e32 v2, v10, v2
	v_or_b32_e32 v3, v11, v3
	s_cbranch_scc1 .LBB4_64
.LBB4_65:                               ;   in Loop: Header=BB4_55 Depth=1
	s_mov_b32 s22, 0
	s_mov_b64 s[4:5], s[6:7]
	s_cbranch_execnz .LBB4_57
.LBB4_66:                               ;   in Loop: Header=BB4_55 Depth=1
	global_load_dwordx2 v[2:3], v7, s[6:7]
	s_add_i32 s22, s16, -8
	s_add_u32 s4, s6, 8
	s_addc_u32 s5, s7, 0
	s_cmp_gt_u32 s22, 7
	s_cbranch_scc0 .LBB4_58
.LBB4_67:                               ;   in Loop: Header=BB4_55 Depth=1
                                        ; implicit-def: $vgpr10_vgpr11
                                        ; implicit-def: $sgpr23
.LBB4_68:                               ;   in Loop: Header=BB4_55 Depth=1
	global_load_dwordx2 v[10:11], v7, s[4:5]
	s_add_i32 s23, s22, -8
	s_add_u32 s4, s4, 8
	s_addc_u32 s5, s5, 0
.LBB4_69:                               ;   in Loop: Header=BB4_55 Depth=1
	s_cmp_gt_u32 s23, 7
	s_cbranch_scc1 .LBB4_74
; %bb.70:                               ;   in Loop: Header=BB4_55 Depth=1
	v_mov_b32_e32 v12, 0
	v_mov_b32_e32 v13, 0
	s_cmp_eq_u32 s23, 0
	s_cbranch_scc1 .LBB4_73
; %bb.71:                               ;   in Loop: Header=BB4_55 Depth=1
	s_mov_b64 s[18:19], 0
	s_mov_b64 s[20:21], 0
.LBB4_72:                               ;   Parent Loop BB4_55 Depth=1
                                        ; =>  This Inner Loop Header: Depth=2
	s_add_u32 s24, s4, s20
	s_addc_u32 s25, s5, s21
	s_add_u32 s20, s20, 1
	global_load_ubyte v6, v7, s[24:25]
	s_addc_u32 s21, s21, 0
	s_waitcnt vmcnt(0)
	v_and_b32_e32 v6, 0xffff, v6
	v_lshlrev_b64 v[14:15], s18, v[6:7]
	s_add_u32 s18, s18, 8
	s_addc_u32 s19, s19, 0
	s_cmp_lg_u32 s23, s20
	v_or_b32_e32 v12, v14, v12
	v_or_b32_e32 v13, v15, v13
	s_cbranch_scc1 .LBB4_72
.LBB4_73:                               ;   in Loop: Header=BB4_55 Depth=1
	s_mov_b32 s22, 0
	s_cbranch_execz .LBB4_75
	s_branch .LBB4_76
.LBB4_74:                               ;   in Loop: Header=BB4_55 Depth=1
                                        ; implicit-def: $sgpr22
.LBB4_75:                               ;   in Loop: Header=BB4_55 Depth=1
	global_load_dwordx2 v[12:13], v7, s[4:5]
	s_add_i32 s22, s23, -8
	s_add_u32 s4, s4, 8
	s_addc_u32 s5, s5, 0
.LBB4_76:                               ;   in Loop: Header=BB4_55 Depth=1
	s_cmp_gt_u32 s22, 7
	s_cbranch_scc1 .LBB4_81
; %bb.77:                               ;   in Loop: Header=BB4_55 Depth=1
	v_mov_b32_e32 v14, 0
	v_mov_b32_e32 v15, 0
	s_cmp_eq_u32 s22, 0
	s_cbranch_scc1 .LBB4_80
; %bb.78:                               ;   in Loop: Header=BB4_55 Depth=1
	s_mov_b64 s[18:19], 0
	s_mov_b64 s[20:21], 0
.LBB4_79:                               ;   Parent Loop BB4_55 Depth=1
                                        ; =>  This Inner Loop Header: Depth=2
	s_add_u32 s24, s4, s20
	s_addc_u32 s25, s5, s21
	s_add_u32 s20, s20, 1
	global_load_ubyte v6, v7, s[24:25]
	s_addc_u32 s21, s21, 0
	s_waitcnt vmcnt(0)
	v_and_b32_e32 v6, 0xffff, v6
	v_lshlrev_b64 v[16:17], s18, v[6:7]
	s_add_u32 s18, s18, 8
	s_addc_u32 s19, s19, 0
	s_cmp_lg_u32 s22, s20
	v_or_b32_e32 v14, v16, v14
	v_or_b32_e32 v15, v17, v15
	s_cbranch_scc1 .LBB4_79
.LBB4_80:                               ;   in Loop: Header=BB4_55 Depth=1
	s_mov_b32 s23, 0
	s_cbranch_execz .LBB4_82
	s_branch .LBB4_83
.LBB4_81:                               ;   in Loop: Header=BB4_55 Depth=1
                                        ; implicit-def: $vgpr14_vgpr15
                                        ; implicit-def: $sgpr23
.LBB4_82:                               ;   in Loop: Header=BB4_55 Depth=1
	global_load_dwordx2 v[14:15], v7, s[4:5]
	s_add_i32 s23, s22, -8
	s_add_u32 s4, s4, 8
	s_addc_u32 s5, s5, 0
.LBB4_83:                               ;   in Loop: Header=BB4_55 Depth=1
	s_cmp_gt_u32 s23, 7
	s_cbranch_scc1 .LBB4_88
; %bb.84:                               ;   in Loop: Header=BB4_55 Depth=1
	v_mov_b32_e32 v16, 0
	v_mov_b32_e32 v17, 0
	s_cmp_eq_u32 s23, 0
	s_cbranch_scc1 .LBB4_87
; %bb.85:                               ;   in Loop: Header=BB4_55 Depth=1
	s_mov_b64 s[18:19], 0
	s_mov_b64 s[20:21], 0
.LBB4_86:                               ;   Parent Loop BB4_55 Depth=1
                                        ; =>  This Inner Loop Header: Depth=2
	s_add_u32 s24, s4, s20
	s_addc_u32 s25, s5, s21
	s_add_u32 s20, s20, 1
	global_load_ubyte v6, v7, s[24:25]
	s_addc_u32 s21, s21, 0
	s_waitcnt vmcnt(0)
	v_and_b32_e32 v6, 0xffff, v6
	v_lshlrev_b64 v[18:19], s18, v[6:7]
	s_add_u32 s18, s18, 8
	s_addc_u32 s19, s19, 0
	s_cmp_lg_u32 s23, s20
	v_or_b32_e32 v16, v18, v16
	v_or_b32_e32 v17, v19, v17
	s_cbranch_scc1 .LBB4_86
.LBB4_87:                               ;   in Loop: Header=BB4_55 Depth=1
	s_mov_b32 s22, 0
	s_cbranch_execz .LBB4_89
	s_branch .LBB4_90
.LBB4_88:                               ;   in Loop: Header=BB4_55 Depth=1
                                        ; implicit-def: $sgpr22
.LBB4_89:                               ;   in Loop: Header=BB4_55 Depth=1
	global_load_dwordx2 v[16:17], v7, s[4:5]
	s_add_i32 s22, s23, -8
	s_add_u32 s4, s4, 8
	s_addc_u32 s5, s5, 0
.LBB4_90:                               ;   in Loop: Header=BB4_55 Depth=1
	s_cmp_gt_u32 s22, 7
	s_cbranch_scc1 .LBB4_95
; %bb.91:                               ;   in Loop: Header=BB4_55 Depth=1
	v_mov_b32_e32 v18, 0
	v_mov_b32_e32 v19, 0
	s_cmp_eq_u32 s22, 0
	s_cbranch_scc1 .LBB4_94
; %bb.92:                               ;   in Loop: Header=BB4_55 Depth=1
	s_mov_b64 s[18:19], 0
	s_mov_b64 s[20:21], 0
.LBB4_93:                               ;   Parent Loop BB4_55 Depth=1
                                        ; =>  This Inner Loop Header: Depth=2
	s_add_u32 s24, s4, s20
	s_addc_u32 s25, s5, s21
	s_add_u32 s20, s20, 1
	global_load_ubyte v6, v7, s[24:25]
	s_addc_u32 s21, s21, 0
	s_waitcnt vmcnt(0)
	v_and_b32_e32 v6, 0xffff, v6
	v_lshlrev_b64 v[20:21], s18, v[6:7]
	s_add_u32 s18, s18, 8
	s_addc_u32 s19, s19, 0
	s_cmp_lg_u32 s22, s20
	v_or_b32_e32 v18, v20, v18
	v_or_b32_e32 v19, v21, v19
	s_cbranch_scc1 .LBB4_93
.LBB4_94:                               ;   in Loop: Header=BB4_55 Depth=1
	s_mov_b32 s23, 0
	s_cbranch_execz .LBB4_96
	s_branch .LBB4_97
.LBB4_95:                               ;   in Loop: Header=BB4_55 Depth=1
                                        ; implicit-def: $vgpr18_vgpr19
                                        ; implicit-def: $sgpr23
.LBB4_96:                               ;   in Loop: Header=BB4_55 Depth=1
	global_load_dwordx2 v[18:19], v7, s[4:5]
	s_add_i32 s23, s22, -8
	s_add_u32 s4, s4, 8
	s_addc_u32 s5, s5, 0
.LBB4_97:                               ;   in Loop: Header=BB4_55 Depth=1
	s_cmp_gt_u32 s23, 7
	s_cbranch_scc1 .LBB4_102
; %bb.98:                               ;   in Loop: Header=BB4_55 Depth=1
	v_mov_b32_e32 v20, 0
	v_mov_b32_e32 v21, 0
	s_cmp_eq_u32 s23, 0
	s_cbranch_scc1 .LBB4_101
; %bb.99:                               ;   in Loop: Header=BB4_55 Depth=1
	s_mov_b64 s[18:19], 0
	s_mov_b64 s[20:21], s[4:5]
.LBB4_100:                              ;   Parent Loop BB4_55 Depth=1
                                        ; =>  This Inner Loop Header: Depth=2
	global_load_ubyte v6, v7, s[20:21]
	s_add_i32 s23, s23, -1
	s_waitcnt vmcnt(0)
	v_and_b32_e32 v6, 0xffff, v6
	v_lshlrev_b64 v[22:23], s18, v[6:7]
	s_add_u32 s18, s18, 8
	s_addc_u32 s19, s19, 0
	s_add_u32 s20, s20, 1
	s_addc_u32 s21, s21, 0
	s_cmp_lg_u32 s23, 0
	v_or_b32_e32 v20, v22, v20
	v_or_b32_e32 v21, v23, v21
	s_cbranch_scc1 .LBB4_100
.LBB4_101:                              ;   in Loop: Header=BB4_55 Depth=1
	s_cbranch_execz .LBB4_103
	s_branch .LBB4_104
.LBB4_102:                              ;   in Loop: Header=BB4_55 Depth=1
.LBB4_103:                              ;   in Loop: Header=BB4_55 Depth=1
	global_load_dwordx2 v[20:21], v7, s[4:5]
.LBB4_104:                              ;   in Loop: Header=BB4_55 Depth=1
	v_readfirstlane_b32 s4, v50
	v_mov_b32_e32 v26, 0
	v_mov_b32_e32 v27, 0
	v_cmp_eq_u32_e64 s4, s4, v50
	s_and_saveexec_b32 s5, s4
	s_cbranch_execz .LBB4_110
; %bb.105:                              ;   in Loop: Header=BB4_55 Depth=1
	global_load_dwordx2 v[24:25], v7, s[26:27] offset:24 glc dlc
	s_waitcnt vmcnt(0)
	buffer_gl1_inv
	buffer_gl0_inv
	s_clause 0x1
	global_load_dwordx2 v[22:23], v7, s[26:27] offset:40
	global_load_dwordx2 v[26:27], v7, s[26:27]
	s_mov_b32 s18, exec_lo
	s_waitcnt vmcnt(1)
	v_and_b32_e32 v6, v23, v25
	v_and_b32_e32 v22, v22, v24
	v_mul_lo_u32 v6, v6, 24
	v_mul_hi_u32 v23, v22, 24
	v_mul_lo_u32 v22, v22, 24
	v_add_nc_u32_e32 v6, v23, v6
	s_waitcnt vmcnt(0)
	v_add_co_u32 v22, vcc_lo, v26, v22
	v_add_co_ci_u32_e32 v23, vcc_lo, v27, v6, vcc_lo
	global_load_dwordx2 v[22:23], v[22:23], off glc dlc
	s_waitcnt vmcnt(0)
	global_atomic_cmpswap_x2 v[26:27], v7, v[22:25], s[26:27] offset:24 glc
	s_waitcnt vmcnt(0)
	buffer_gl1_inv
	buffer_gl0_inv
	v_cmpx_ne_u64_e64 v[26:27], v[24:25]
	s_cbranch_execz .LBB4_109
; %bb.106:                              ;   in Loop: Header=BB4_55 Depth=1
	s_mov_b32 s19, 0
	.p2align	6
.LBB4_107:                              ;   Parent Loop BB4_55 Depth=1
                                        ; =>  This Inner Loop Header: Depth=2
	s_sleep 1
	s_clause 0x1
	global_load_dwordx2 v[22:23], v7, s[26:27] offset:40
	global_load_dwordx2 v[29:30], v7, s[26:27]
	v_mov_b32_e32 v24, v26
	v_mov_b32_e32 v25, v27
	s_waitcnt vmcnt(1)
	v_and_b32_e32 v6, v22, v24
	v_and_b32_e32 v22, v23, v25
	s_waitcnt vmcnt(0)
	v_mad_u64_u32 v[26:27], null, v6, 24, v[29:30]
	v_mov_b32_e32 v6, v27
	v_mad_u64_u32 v[22:23], null, v22, 24, v[6:7]
	v_mov_b32_e32 v27, v22
	global_load_dwordx2 v[22:23], v[26:27], off glc dlc
	s_waitcnt vmcnt(0)
	global_atomic_cmpswap_x2 v[26:27], v7, v[22:25], s[26:27] offset:24 glc
	s_waitcnt vmcnt(0)
	buffer_gl1_inv
	buffer_gl0_inv
	v_cmp_eq_u64_e32 vcc_lo, v[26:27], v[24:25]
	s_or_b32 s19, vcc_lo, s19
	s_andn2_b32 exec_lo, exec_lo, s19
	s_cbranch_execnz .LBB4_107
; %bb.108:                              ;   in Loop: Header=BB4_55 Depth=1
	s_or_b32 exec_lo, exec_lo, s19
.LBB4_109:                              ;   in Loop: Header=BB4_55 Depth=1
	s_or_b32 exec_lo, exec_lo, s18
.LBB4_110:                              ;   in Loop: Header=BB4_55 Depth=1
	s_or_b32 exec_lo, exec_lo, s5
	s_clause 0x1
	global_load_dwordx2 v[29:30], v7, s[26:27] offset:40
	global_load_dwordx4 v[22:25], v7, s[26:27]
	v_readfirstlane_b32 s18, v26
	v_readfirstlane_b32 s19, v27
	s_mov_b32 s5, exec_lo
	s_waitcnt vmcnt(1)
	v_readfirstlane_b32 s20, v29
	v_readfirstlane_b32 s21, v30
	s_and_b64 s[20:21], s[18:19], s[20:21]
	s_mul_i32 s22, s21, 24
	s_mul_hi_u32 s23, s20, 24
	s_mul_i32 s24, s20, 24
	s_add_i32 s23, s23, s22
	s_waitcnt vmcnt(0)
	v_add_co_u32 v26, vcc_lo, v22, s24
	v_add_co_ci_u32_e32 v27, vcc_lo, s23, v23, vcc_lo
	s_and_saveexec_b32 s22, s4
	s_cbranch_execz .LBB4_112
; %bb.111:                              ;   in Loop: Header=BB4_55 Depth=1
	v_mov_b32_e32 v6, s5
	global_store_dwordx4 v[26:27], v[6:9], off offset:8
.LBB4_112:                              ;   in Loop: Header=BB4_55 Depth=1
	s_or_b32 exec_lo, exec_lo, s22
	s_lshl_b64 s[20:21], s[20:21], 12
	v_cmp_gt_u64_e64 vcc_lo, s[10:11], 56
	v_or_b32_e32 v29, v0, v28
	v_add_co_u32 v24, s5, v24, s20
	v_add_co_ci_u32_e64 v25, s5, s21, v25, s5
	s_lshl_b32 s5, s16, 2
	v_or_b32_e32 v6, 0, v1
	v_cndmask_b32_e32 v0, v29, v0, vcc_lo
	s_add_i32 s5, s5, 28
	v_readfirstlane_b32 s20, v24
	s_and_b32 s5, s5, 0x1e0
	v_cndmask_b32_e32 v1, v6, v1, vcc_lo
	v_readfirstlane_b32 s21, v25
	v_and_or_b32 v0, 0xffffff1f, v0, s5
	global_store_dwordx4 v39, v[0:3], s[20:21]
	global_store_dwordx4 v39, v[10:13], s[20:21] offset:16
	global_store_dwordx4 v39, v[14:17], s[20:21] offset:32
	;; [unrolled: 1-line block ×3, first 2 shown]
	s_and_saveexec_b32 s5, s4
	s_cbranch_execz .LBB4_120
; %bb.113:                              ;   in Loop: Header=BB4_55 Depth=1
	s_clause 0x1
	global_load_dwordx2 v[14:15], v7, s[26:27] offset:32 glc dlc
	global_load_dwordx2 v[0:1], v7, s[26:27] offset:40
	v_mov_b32_e32 v12, s18
	v_mov_b32_e32 v13, s19
	s_waitcnt vmcnt(0)
	v_readfirstlane_b32 s20, v0
	v_readfirstlane_b32 s21, v1
	s_and_b64 s[20:21], s[20:21], s[18:19]
	s_mul_i32 s21, s21, 24
	s_mul_hi_u32 s22, s20, 24
	s_mul_i32 s20, s20, 24
	s_add_i32 s22, s22, s21
	v_add_co_u32 v10, vcc_lo, v22, s20
	v_add_co_ci_u32_e32 v11, vcc_lo, s22, v23, vcc_lo
	s_mov_b32 s20, exec_lo
	global_store_dwordx2 v[10:11], v[14:15], off
	s_waitcnt_vscnt null, 0x0
	global_atomic_cmpswap_x2 v[2:3], v7, v[12:15], s[26:27] offset:32 glc
	s_waitcnt vmcnt(0)
	v_cmpx_ne_u64_e64 v[2:3], v[14:15]
	s_cbranch_execz .LBB4_116
; %bb.114:                              ;   in Loop: Header=BB4_55 Depth=1
	s_mov_b32 s21, 0
.LBB4_115:                              ;   Parent Loop BB4_55 Depth=1
                                        ; =>  This Inner Loop Header: Depth=2
	v_mov_b32_e32 v0, s18
	v_mov_b32_e32 v1, s19
	s_sleep 1
	global_store_dwordx2 v[10:11], v[2:3], off
	s_waitcnt_vscnt null, 0x0
	global_atomic_cmpswap_x2 v[0:1], v7, v[0:3], s[26:27] offset:32 glc
	s_waitcnt vmcnt(0)
	v_cmp_eq_u64_e32 vcc_lo, v[0:1], v[2:3]
	v_mov_b32_e32 v3, v1
	v_mov_b32_e32 v2, v0
	s_or_b32 s21, vcc_lo, s21
	s_andn2_b32 exec_lo, exec_lo, s21
	s_cbranch_execnz .LBB4_115
.LBB4_116:                              ;   in Loop: Header=BB4_55 Depth=1
	s_or_b32 exec_lo, exec_lo, s20
	global_load_dwordx2 v[0:1], v7, s[26:27] offset:16
	s_mov_b32 s21, exec_lo
	s_mov_b32 s20, exec_lo
	v_mbcnt_lo_u32_b32 v2, s21, 0
	v_cmpx_eq_u32_e32 0, v2
	s_cbranch_execz .LBB4_118
; %bb.117:                              ;   in Loop: Header=BB4_55 Depth=1
	s_bcnt1_i32_b32 s21, s21
	v_mov_b32_e32 v6, s21
	s_waitcnt vmcnt(0)
	global_atomic_add_x2 v[0:1], v[6:7], off offset:8
.LBB4_118:                              ;   in Loop: Header=BB4_55 Depth=1
	s_or_b32 exec_lo, exec_lo, s20
	s_waitcnt vmcnt(0)
	global_load_dwordx2 v[2:3], v[0:1], off offset:16
	s_waitcnt vmcnt(0)
	v_cmp_eq_u64_e32 vcc_lo, 0, v[2:3]
	s_cbranch_vccnz .LBB4_120
; %bb.119:                              ;   in Loop: Header=BB4_55 Depth=1
	global_load_dword v6, v[0:1], off offset:24
	s_waitcnt vmcnt(0)
	v_and_b32_e32 v0, 0x7fffff, v6
	s_waitcnt_vscnt null, 0x0
	global_store_dwordx2 v[2:3], v[6:7], off
	v_readfirstlane_b32 m0, v0
	s_sendmsg sendmsg(MSG_INTERRUPT)
.LBB4_120:                              ;   in Loop: Header=BB4_55 Depth=1
	s_or_b32 exec_lo, exec_lo, s5
	v_add_co_u32 v0, vcc_lo, v24, v39
	v_add_co_ci_u32_e32 v1, vcc_lo, 0, v25, vcc_lo
	s_branch .LBB4_124
	.p2align	6
.LBB4_121:                              ;   in Loop: Header=BB4_124 Depth=2
	s_or_b32 exec_lo, exec_lo, s5
	v_readfirstlane_b32 s5, v2
	s_cmp_eq_u32 s5, 0
	s_cbranch_scc1 .LBB4_123
; %bb.122:                              ;   in Loop: Header=BB4_124 Depth=2
	s_sleep 1
	s_cbranch_execnz .LBB4_124
	s_branch .LBB4_126
	.p2align	6
.LBB4_123:                              ;   in Loop: Header=BB4_55 Depth=1
	s_branch .LBB4_126
.LBB4_124:                              ;   Parent Loop BB4_55 Depth=1
                                        ; =>  This Inner Loop Header: Depth=2
	v_mov_b32_e32 v2, 1
	s_and_saveexec_b32 s5, s4
	s_cbranch_execz .LBB4_121
; %bb.125:                              ;   in Loop: Header=BB4_124 Depth=2
	global_load_dword v2, v[26:27], off offset:20 glc dlc
	s_waitcnt vmcnt(0)
	buffer_gl1_inv
	buffer_gl0_inv
	v_and_b32_e32 v2, 1, v2
	s_branch .LBB4_121
.LBB4_126:                              ;   in Loop: Header=BB4_55 Depth=1
	global_load_dwordx4 v[0:3], v[0:1], off
	s_and_saveexec_b32 s5, s4
	s_cbranch_execz .LBB4_54
; %bb.127:                              ;   in Loop: Header=BB4_55 Depth=1
	s_clause 0x2
	global_load_dwordx2 v[2:3], v7, s[26:27] offset:40
	global_load_dwordx2 v[14:15], v7, s[26:27] offset:24 glc dlc
	global_load_dwordx2 v[12:13], v7, s[26:27]
	s_waitcnt vmcnt(2)
	v_add_co_u32 v6, vcc_lo, v2, 1
	v_add_co_ci_u32_e32 v16, vcc_lo, 0, v3, vcc_lo
	v_add_co_u32 v10, vcc_lo, v6, s18
	v_add_co_ci_u32_e32 v11, vcc_lo, s19, v16, vcc_lo
	v_cmp_eq_u64_e32 vcc_lo, 0, v[10:11]
	v_cndmask_b32_e32 v11, v11, v16, vcc_lo
	v_cndmask_b32_e32 v10, v10, v6, vcc_lo
	v_and_b32_e32 v3, v11, v3
	v_and_b32_e32 v2, v10, v2
	v_mul_lo_u32 v3, v3, 24
	v_mul_hi_u32 v6, v2, 24
	v_mul_lo_u32 v2, v2, 24
	v_add_nc_u32_e32 v3, v6, v3
	s_waitcnt vmcnt(0)
	v_add_co_u32 v2, vcc_lo, v12, v2
	v_mov_b32_e32 v12, v14
	v_add_co_ci_u32_e32 v3, vcc_lo, v13, v3, vcc_lo
	v_mov_b32_e32 v13, v15
	global_store_dwordx2 v[2:3], v[14:15], off
	s_waitcnt_vscnt null, 0x0
	global_atomic_cmpswap_x2 v[12:13], v7, v[10:13], s[26:27] offset:24 glc
	s_waitcnt vmcnt(0)
	v_cmp_ne_u64_e32 vcc_lo, v[12:13], v[14:15]
	s_and_b32 exec_lo, exec_lo, vcc_lo
	s_cbranch_execz .LBB4_54
; %bb.128:                              ;   in Loop: Header=BB4_55 Depth=1
	s_mov_b32 s4, 0
.LBB4_129:                              ;   Parent Loop BB4_55 Depth=1
                                        ; =>  This Inner Loop Header: Depth=2
	s_sleep 1
	global_store_dwordx2 v[2:3], v[12:13], off
	s_waitcnt_vscnt null, 0x0
	global_atomic_cmpswap_x2 v[14:15], v7, v[10:13], s[26:27] offset:24 glc
	s_waitcnt vmcnt(0)
	v_cmp_eq_u64_e32 vcc_lo, v[14:15], v[12:13]
	v_mov_b32_e32 v12, v14
	v_mov_b32_e32 v13, v15
	s_or_b32 s4, vcc_lo, s4
	s_andn2_b32 exec_lo, exec_lo, s4
	s_cbranch_execnz .LBB4_129
	s_branch .LBB4_54
.LBB4_130:
	s_branch .LBB4_159
.LBB4_131:
                                        ; implicit-def: $vgpr0_vgpr1
	s_cbranch_execz .LBB4_159
; %bb.132:
	v_readfirstlane_b32 s4, v50
	v_mov_b32_e32 v7, 0
	v_mov_b32_e32 v8, 0
	v_cmp_eq_u32_e64 s4, s4, v50
	s_and_saveexec_b32 s5, s4
	s_cbranch_execz .LBB4_138
; %bb.133:
	s_waitcnt vmcnt(0)
	v_mov_b32_e32 v0, 0
	s_mov_b32 s6, exec_lo
	global_load_dwordx2 v[9:10], v0, s[26:27] offset:24 glc dlc
	s_waitcnt vmcnt(0)
	buffer_gl1_inv
	buffer_gl0_inv
	s_clause 0x1
	global_load_dwordx2 v[1:2], v0, s[26:27] offset:40
	global_load_dwordx2 v[6:7], v0, s[26:27]
	s_waitcnt vmcnt(1)
	v_and_b32_e32 v2, v2, v10
	v_and_b32_e32 v1, v1, v9
	v_mul_lo_u32 v2, v2, 24
	v_mul_hi_u32 v3, v1, 24
	v_mul_lo_u32 v1, v1, 24
	v_add_nc_u32_e32 v2, v3, v2
	s_waitcnt vmcnt(0)
	v_add_co_u32 v1, vcc_lo, v6, v1
	v_add_co_ci_u32_e32 v2, vcc_lo, v7, v2, vcc_lo
	global_load_dwordx2 v[7:8], v[1:2], off glc dlc
	s_waitcnt vmcnt(0)
	global_atomic_cmpswap_x2 v[7:8], v0, v[7:10], s[26:27] offset:24 glc
	s_waitcnt vmcnt(0)
	buffer_gl1_inv
	buffer_gl0_inv
	v_cmpx_ne_u64_e64 v[7:8], v[9:10]
	s_cbranch_execz .LBB4_137
; %bb.134:
	s_mov_b32 s7, 0
	.p2align	6
.LBB4_135:                              ; =>This Inner Loop Header: Depth=1
	s_sleep 1
	s_clause 0x1
	global_load_dwordx2 v[1:2], v0, s[26:27] offset:40
	global_load_dwordx2 v[11:12], v0, s[26:27]
	v_mov_b32_e32 v10, v8
	v_mov_b32_e32 v9, v7
	s_waitcnt vmcnt(1)
	v_and_b32_e32 v1, v1, v9
	v_and_b32_e32 v2, v2, v10
	s_waitcnt vmcnt(0)
	v_mad_u64_u32 v[6:7], null, v1, 24, v[11:12]
	v_mov_b32_e32 v1, v7
	v_mad_u64_u32 v[1:2], null, v2, 24, v[1:2]
	v_mov_b32_e32 v7, v1
	global_load_dwordx2 v[7:8], v[6:7], off glc dlc
	s_waitcnt vmcnt(0)
	global_atomic_cmpswap_x2 v[7:8], v0, v[7:10], s[26:27] offset:24 glc
	s_waitcnt vmcnt(0)
	buffer_gl1_inv
	buffer_gl0_inv
	v_cmp_eq_u64_e32 vcc_lo, v[7:8], v[9:10]
	s_or_b32 s7, vcc_lo, s7
	s_andn2_b32 exec_lo, exec_lo, s7
	s_cbranch_execnz .LBB4_135
; %bb.136:
	s_or_b32 exec_lo, exec_lo, s7
.LBB4_137:
	s_or_b32 exec_lo, exec_lo, s6
.LBB4_138:
	s_or_b32 exec_lo, exec_lo, s5
	v_mov_b32_e32 v6, 0
	v_readfirstlane_b32 s6, v7
	v_readfirstlane_b32 s7, v8
	s_mov_b32 s5, exec_lo
	s_clause 0x1
	global_load_dwordx2 v[9:10], v6, s[26:27] offset:40
	global_load_dwordx4 v[0:3], v6, s[26:27]
	s_waitcnt vmcnt(1)
	v_readfirstlane_b32 s10, v9
	v_readfirstlane_b32 s11, v10
	s_and_b64 s[10:11], s[6:7], s[10:11]
	s_mul_i32 s16, s11, 24
	s_mul_hi_u32 s17, s10, 24
	s_mul_i32 s18, s10, 24
	s_add_i32 s17, s17, s16
	s_waitcnt vmcnt(0)
	v_add_co_u32 v8, vcc_lo, v0, s18
	v_add_co_ci_u32_e32 v9, vcc_lo, s17, v1, vcc_lo
	s_and_saveexec_b32 s16, s4
	s_cbranch_execz .LBB4_140
; %bb.139:
	v_mov_b32_e32 v10, s5
	v_mov_b32_e32 v11, v6
	;; [unrolled: 1-line block ×4, first 2 shown]
	global_store_dwordx4 v[8:9], v[10:13], off offset:8
.LBB4_140:
	s_or_b32 exec_lo, exec_lo, s16
	s_lshl_b64 s[10:11], s[10:11], 12
	s_mov_b32 s16, 0
	v_add_co_u32 v2, vcc_lo, v2, s10
	v_add_co_ci_u32_e32 v3, vcc_lo, s11, v3, vcc_lo
	s_mov_b32 s17, s16
	v_add_co_u32 v10, vcc_lo, v2, v39
	s_mov_b32 s18, s16
	s_mov_b32 s19, s16
	v_and_or_b32 v4, 0xffffff1f, v4, 32
	v_mov_b32_e32 v7, v6
	v_readfirstlane_b32 s10, v2
	v_readfirstlane_b32 s11, v3
	v_mov_b32_e32 v12, s16
	v_add_co_ci_u32_e32 v11, vcc_lo, 0, v3, vcc_lo
	v_mov_b32_e32 v13, s17
	v_mov_b32_e32 v14, s18
	v_mov_b32_e32 v15, s19
	global_store_dwordx4 v39, v[4:7], s[10:11]
	global_store_dwordx4 v39, v[12:15], s[10:11] offset:16
	global_store_dwordx4 v39, v[12:15], s[10:11] offset:32
	global_store_dwordx4 v39, v[12:15], s[10:11] offset:48
	s_and_saveexec_b32 s5, s4
	s_cbranch_execz .LBB4_148
; %bb.141:
	v_mov_b32_e32 v6, 0
	v_mov_b32_e32 v12, s6
	;; [unrolled: 1-line block ×3, first 2 shown]
	s_clause 0x1
	global_load_dwordx2 v[14:15], v6, s[26:27] offset:32 glc dlc
	global_load_dwordx2 v[2:3], v6, s[26:27] offset:40
	s_waitcnt vmcnt(0)
	v_readfirstlane_b32 s10, v2
	v_readfirstlane_b32 s11, v3
	s_and_b64 s[10:11], s[10:11], s[6:7]
	s_mul_i32 s11, s11, 24
	s_mul_hi_u32 s16, s10, 24
	s_mul_i32 s10, s10, 24
	s_add_i32 s16, s16, s11
	v_add_co_u32 v4, vcc_lo, v0, s10
	v_add_co_ci_u32_e32 v5, vcc_lo, s16, v1, vcc_lo
	s_mov_b32 s10, exec_lo
	global_store_dwordx2 v[4:5], v[14:15], off
	s_waitcnt_vscnt null, 0x0
	global_atomic_cmpswap_x2 v[2:3], v6, v[12:15], s[26:27] offset:32 glc
	s_waitcnt vmcnt(0)
	v_cmpx_ne_u64_e64 v[2:3], v[14:15]
	s_cbranch_execz .LBB4_144
; %bb.142:
	s_mov_b32 s11, 0
.LBB4_143:                              ; =>This Inner Loop Header: Depth=1
	v_mov_b32_e32 v0, s6
	v_mov_b32_e32 v1, s7
	s_sleep 1
	global_store_dwordx2 v[4:5], v[2:3], off
	s_waitcnt_vscnt null, 0x0
	global_atomic_cmpswap_x2 v[0:1], v6, v[0:3], s[26:27] offset:32 glc
	s_waitcnt vmcnt(0)
	v_cmp_eq_u64_e32 vcc_lo, v[0:1], v[2:3]
	v_mov_b32_e32 v3, v1
	v_mov_b32_e32 v2, v0
	s_or_b32 s11, vcc_lo, s11
	s_andn2_b32 exec_lo, exec_lo, s11
	s_cbranch_execnz .LBB4_143
.LBB4_144:
	s_or_b32 exec_lo, exec_lo, s10
	v_mov_b32_e32 v3, 0
	s_mov_b32 s11, exec_lo
	s_mov_b32 s10, exec_lo
	v_mbcnt_lo_u32_b32 v2, s11, 0
	global_load_dwordx2 v[0:1], v3, s[26:27] offset:16
	v_cmpx_eq_u32_e32 0, v2
	s_cbranch_execz .LBB4_146
; %bb.145:
	s_bcnt1_i32_b32 s11, s11
	v_mov_b32_e32 v2, s11
	s_waitcnt vmcnt(0)
	global_atomic_add_x2 v[0:1], v[2:3], off offset:8
.LBB4_146:
	s_or_b32 exec_lo, exec_lo, s10
	s_waitcnt vmcnt(0)
	global_load_dwordx2 v[2:3], v[0:1], off offset:16
	s_waitcnt vmcnt(0)
	v_cmp_eq_u64_e32 vcc_lo, 0, v[2:3]
	s_cbranch_vccnz .LBB4_148
; %bb.147:
	global_load_dword v0, v[0:1], off offset:24
	v_mov_b32_e32 v1, 0
	s_waitcnt vmcnt(0)
	v_and_b32_e32 v4, 0x7fffff, v0
	s_waitcnt_vscnt null, 0x0
	global_store_dwordx2 v[2:3], v[0:1], off
	v_readfirstlane_b32 m0, v4
	s_sendmsg sendmsg(MSG_INTERRUPT)
.LBB4_148:
	s_or_b32 exec_lo, exec_lo, s5
	s_branch .LBB4_152
	.p2align	6
.LBB4_149:                              ;   in Loop: Header=BB4_152 Depth=1
	s_or_b32 exec_lo, exec_lo, s5
	v_readfirstlane_b32 s5, v0
	s_cmp_eq_u32 s5, 0
	s_cbranch_scc1 .LBB4_151
; %bb.150:                              ;   in Loop: Header=BB4_152 Depth=1
	s_sleep 1
	s_cbranch_execnz .LBB4_152
	s_branch .LBB4_154
	.p2align	6
.LBB4_151:
	s_branch .LBB4_154
.LBB4_152:                              ; =>This Inner Loop Header: Depth=1
	v_mov_b32_e32 v0, 1
	s_and_saveexec_b32 s5, s4
	s_cbranch_execz .LBB4_149
; %bb.153:                              ;   in Loop: Header=BB4_152 Depth=1
	global_load_dword v0, v[8:9], off offset:20 glc dlc
	s_waitcnt vmcnt(0)
	buffer_gl1_inv
	buffer_gl0_inv
	v_and_b32_e32 v0, 1, v0
	s_branch .LBB4_149
.LBB4_154:
	global_load_dwordx2 v[0:1], v[10:11], off
	s_and_saveexec_b32 s5, s4
	s_cbranch_execz .LBB4_158
; %bb.155:
	v_mov_b32_e32 v8, 0
	s_clause 0x2
	global_load_dwordx2 v[4:5], v8, s[26:27] offset:40
	global_load_dwordx2 v[9:10], v8, s[26:27] offset:24 glc dlc
	global_load_dwordx2 v[6:7], v8, s[26:27]
	s_waitcnt vmcnt(2)
	v_add_co_u32 v11, vcc_lo, v4, 1
	v_add_co_ci_u32_e32 v12, vcc_lo, 0, v5, vcc_lo
	v_add_co_u32 v2, vcc_lo, v11, s6
	v_add_co_ci_u32_e32 v3, vcc_lo, s7, v12, vcc_lo
	v_cmp_eq_u64_e32 vcc_lo, 0, v[2:3]
	v_cndmask_b32_e32 v3, v3, v12, vcc_lo
	v_cndmask_b32_e32 v2, v2, v11, vcc_lo
	v_and_b32_e32 v5, v3, v5
	v_and_b32_e32 v4, v2, v4
	v_mul_lo_u32 v5, v5, 24
	v_mul_hi_u32 v11, v4, 24
	v_mul_lo_u32 v4, v4, 24
	v_add_nc_u32_e32 v5, v11, v5
	s_waitcnt vmcnt(0)
	v_add_co_u32 v6, vcc_lo, v6, v4
	v_mov_b32_e32 v4, v9
	v_add_co_ci_u32_e32 v7, vcc_lo, v7, v5, vcc_lo
	v_mov_b32_e32 v5, v10
	global_store_dwordx2 v[6:7], v[9:10], off
	s_waitcnt_vscnt null, 0x0
	global_atomic_cmpswap_x2 v[4:5], v8, v[2:5], s[26:27] offset:24 glc
	s_waitcnt vmcnt(0)
	v_cmp_ne_u64_e32 vcc_lo, v[4:5], v[9:10]
	s_and_b32 exec_lo, exec_lo, vcc_lo
	s_cbranch_execz .LBB4_158
; %bb.156:
	s_mov_b32 s4, 0
.LBB4_157:                              ; =>This Inner Loop Header: Depth=1
	s_sleep 1
	global_store_dwordx2 v[6:7], v[4:5], off
	s_waitcnt_vscnt null, 0x0
	global_atomic_cmpswap_x2 v[9:10], v8, v[2:5], s[26:27] offset:24 glc
	s_waitcnt vmcnt(0)
	v_cmp_eq_u64_e32 vcc_lo, v[9:10], v[4:5]
	v_mov_b32_e32 v4, v9
	v_mov_b32_e32 v5, v10
	s_or_b32 s4, vcc_lo, s4
	s_andn2_b32 exec_lo, exec_lo, s4
	s_cbranch_execnz .LBB4_157
.LBB4_158:
	s_or_b32 exec_lo, exec_lo, s5
.LBB4_159:
	s_getpc_b64 s[6:7]
	s_add_u32 s6, s6, __PRETTY_FUNCTION__._ZL26search_stress_long_patternRN8migraphx4test12test_managerE@rel32@lo+4
	s_addc_u32 s7, s7, __PRETTY_FUNCTION__._ZL26search_stress_long_patternRN8migraphx4test12test_managerE@rel32@hi+12
	s_cmp_lg_u64 s[6:7], 0
	s_cbranch_scc0 .LBB4_238
; %bb.160:
	s_waitcnt vmcnt(0)
	v_and_b32_e32 v6, -3, v0
	v_mov_b32_e32 v7, v1
	v_mov_b32_e32 v3, 0
	;; [unrolled: 1-line block ×4, first 2 shown]
	s_mov_b64 s[10:11], 64
	s_branch .LBB4_162
.LBB4_161:                              ;   in Loop: Header=BB4_162 Depth=1
	s_or_b32 exec_lo, exec_lo, s5
	s_sub_u32 s10, s10, s16
	s_subb_u32 s11, s11, s17
	s_add_u32 s6, s6, s16
	s_addc_u32 s7, s7, s17
	s_cmp_lg_u64 s[10:11], 0
	s_cbranch_scc0 .LBB4_237
.LBB4_162:                              ; =>This Loop Header: Depth=1
                                        ;     Child Loop BB4_171 Depth 2
                                        ;     Child Loop BB4_167 Depth 2
	;; [unrolled: 1-line block ×11, first 2 shown]
	v_cmp_lt_u64_e64 s4, s[10:11], 56
	v_cmp_gt_u64_e64 s5, s[10:11], 7
                                        ; implicit-def: $sgpr22
	s_and_b32 s4, s4, exec_lo
	s_cselect_b32 s17, s11, 0
	s_cselect_b32 s16, s10, 56
	s_and_b32 vcc_lo, exec_lo, s5
	s_mov_b32 s4, -1
	s_cbranch_vccz .LBB4_169
; %bb.163:                              ;   in Loop: Header=BB4_162 Depth=1
	s_andn2_b32 vcc_lo, exec_lo, s4
	s_mov_b64 s[4:5], s[6:7]
	s_cbranch_vccz .LBB4_173
.LBB4_164:                              ;   in Loop: Header=BB4_162 Depth=1
	s_cmp_gt_u32 s22, 7
	s_cbranch_scc1 .LBB4_174
.LBB4_165:                              ;   in Loop: Header=BB4_162 Depth=1
	v_mov_b32_e32 v10, 0
	v_mov_b32_e32 v11, 0
	s_cmp_eq_u32 s22, 0
	s_cbranch_scc1 .LBB4_168
; %bb.166:                              ;   in Loop: Header=BB4_162 Depth=1
	s_mov_b64 s[18:19], 0
	s_mov_b64 s[20:21], 0
.LBB4_167:                              ;   Parent Loop BB4_162 Depth=1
                                        ; =>  This Inner Loop Header: Depth=2
	s_add_u32 s24, s4, s20
	s_addc_u32 s25, s5, s21
	s_add_u32 s20, s20, 1
	global_load_ubyte v2, v3, s[24:25]
	s_addc_u32 s21, s21, 0
	s_waitcnt vmcnt(0)
	v_and_b32_e32 v2, 0xffff, v2
	v_lshlrev_b64 v[12:13], s18, v[2:3]
	s_add_u32 s18, s18, 8
	s_addc_u32 s19, s19, 0
	s_cmp_lg_u32 s22, s20
	v_or_b32_e32 v10, v12, v10
	v_or_b32_e32 v11, v13, v11
	s_cbranch_scc1 .LBB4_167
.LBB4_168:                              ;   in Loop: Header=BB4_162 Depth=1
	s_mov_b32 s23, 0
	s_cbranch_execz .LBB4_175
	s_branch .LBB4_176
.LBB4_169:                              ;   in Loop: Header=BB4_162 Depth=1
	s_waitcnt vmcnt(0)
	v_mov_b32_e32 v8, 0
	v_mov_b32_e32 v9, 0
	s_cmp_eq_u64 s[10:11], 0
	s_mov_b64 s[4:5], 0
	s_cbranch_scc1 .LBB4_172
; %bb.170:                              ;   in Loop: Header=BB4_162 Depth=1
	v_mov_b32_e32 v8, 0
	v_mov_b32_e32 v9, 0
	s_lshl_b64 s[18:19], s[16:17], 3
	s_mov_b64 s[20:21], s[6:7]
.LBB4_171:                              ;   Parent Loop BB4_162 Depth=1
                                        ; =>  This Inner Loop Header: Depth=2
	global_load_ubyte v2, v3, s[20:21]
	s_waitcnt vmcnt(0)
	v_and_b32_e32 v2, 0xffff, v2
	v_lshlrev_b64 v[10:11], s4, v[2:3]
	s_add_u32 s4, s4, 8
	s_addc_u32 s5, s5, 0
	s_add_u32 s20, s20, 1
	s_addc_u32 s21, s21, 0
	s_cmp_lg_u32 s18, s4
	v_or_b32_e32 v8, v10, v8
	v_or_b32_e32 v9, v11, v9
	s_cbranch_scc1 .LBB4_171
.LBB4_172:                              ;   in Loop: Header=BB4_162 Depth=1
	s_mov_b32 s22, 0
	s_mov_b64 s[4:5], s[6:7]
	s_cbranch_execnz .LBB4_164
.LBB4_173:                              ;   in Loop: Header=BB4_162 Depth=1
	global_load_dwordx2 v[8:9], v3, s[6:7]
	s_add_i32 s22, s16, -8
	s_add_u32 s4, s6, 8
	s_addc_u32 s5, s7, 0
	s_cmp_gt_u32 s22, 7
	s_cbranch_scc0 .LBB4_165
.LBB4_174:                              ;   in Loop: Header=BB4_162 Depth=1
                                        ; implicit-def: $vgpr10_vgpr11
                                        ; implicit-def: $sgpr23
.LBB4_175:                              ;   in Loop: Header=BB4_162 Depth=1
	global_load_dwordx2 v[10:11], v3, s[4:5]
	s_add_i32 s23, s22, -8
	s_add_u32 s4, s4, 8
	s_addc_u32 s5, s5, 0
.LBB4_176:                              ;   in Loop: Header=BB4_162 Depth=1
	s_cmp_gt_u32 s23, 7
	s_cbranch_scc1 .LBB4_181
; %bb.177:                              ;   in Loop: Header=BB4_162 Depth=1
	v_mov_b32_e32 v12, 0
	v_mov_b32_e32 v13, 0
	s_cmp_eq_u32 s23, 0
	s_cbranch_scc1 .LBB4_180
; %bb.178:                              ;   in Loop: Header=BB4_162 Depth=1
	s_mov_b64 s[18:19], 0
	s_mov_b64 s[20:21], 0
.LBB4_179:                              ;   Parent Loop BB4_162 Depth=1
                                        ; =>  This Inner Loop Header: Depth=2
	s_add_u32 s24, s4, s20
	s_addc_u32 s25, s5, s21
	s_add_u32 s20, s20, 1
	global_load_ubyte v2, v3, s[24:25]
	s_addc_u32 s21, s21, 0
	s_waitcnt vmcnt(0)
	v_and_b32_e32 v2, 0xffff, v2
	v_lshlrev_b64 v[14:15], s18, v[2:3]
	s_add_u32 s18, s18, 8
	s_addc_u32 s19, s19, 0
	s_cmp_lg_u32 s23, s20
	v_or_b32_e32 v12, v14, v12
	v_or_b32_e32 v13, v15, v13
	s_cbranch_scc1 .LBB4_179
.LBB4_180:                              ;   in Loop: Header=BB4_162 Depth=1
	s_mov_b32 s22, 0
	s_cbranch_execz .LBB4_182
	s_branch .LBB4_183
.LBB4_181:                              ;   in Loop: Header=BB4_162 Depth=1
                                        ; implicit-def: $sgpr22
.LBB4_182:                              ;   in Loop: Header=BB4_162 Depth=1
	global_load_dwordx2 v[12:13], v3, s[4:5]
	s_add_i32 s22, s23, -8
	s_add_u32 s4, s4, 8
	s_addc_u32 s5, s5, 0
.LBB4_183:                              ;   in Loop: Header=BB4_162 Depth=1
	s_cmp_gt_u32 s22, 7
	s_cbranch_scc1 .LBB4_188
; %bb.184:                              ;   in Loop: Header=BB4_162 Depth=1
	v_mov_b32_e32 v14, 0
	v_mov_b32_e32 v15, 0
	s_cmp_eq_u32 s22, 0
	s_cbranch_scc1 .LBB4_187
; %bb.185:                              ;   in Loop: Header=BB4_162 Depth=1
	s_mov_b64 s[18:19], 0
	s_mov_b64 s[20:21], 0
.LBB4_186:                              ;   Parent Loop BB4_162 Depth=1
                                        ; =>  This Inner Loop Header: Depth=2
	s_add_u32 s24, s4, s20
	s_addc_u32 s25, s5, s21
	s_add_u32 s20, s20, 1
	global_load_ubyte v2, v3, s[24:25]
	s_addc_u32 s21, s21, 0
	s_waitcnt vmcnt(0)
	v_and_b32_e32 v2, 0xffff, v2
	v_lshlrev_b64 v[16:17], s18, v[2:3]
	s_add_u32 s18, s18, 8
	s_addc_u32 s19, s19, 0
	s_cmp_lg_u32 s22, s20
	v_or_b32_e32 v14, v16, v14
	v_or_b32_e32 v15, v17, v15
	s_cbranch_scc1 .LBB4_186
.LBB4_187:                              ;   in Loop: Header=BB4_162 Depth=1
	s_mov_b32 s23, 0
	s_cbranch_execz .LBB4_189
	s_branch .LBB4_190
.LBB4_188:                              ;   in Loop: Header=BB4_162 Depth=1
                                        ; implicit-def: $vgpr14_vgpr15
                                        ; implicit-def: $sgpr23
.LBB4_189:                              ;   in Loop: Header=BB4_162 Depth=1
	global_load_dwordx2 v[14:15], v3, s[4:5]
	s_add_i32 s23, s22, -8
	s_add_u32 s4, s4, 8
	s_addc_u32 s5, s5, 0
.LBB4_190:                              ;   in Loop: Header=BB4_162 Depth=1
	s_cmp_gt_u32 s23, 7
	s_cbranch_scc1 .LBB4_195
; %bb.191:                              ;   in Loop: Header=BB4_162 Depth=1
	v_mov_b32_e32 v16, 0
	v_mov_b32_e32 v17, 0
	s_cmp_eq_u32 s23, 0
	s_cbranch_scc1 .LBB4_194
; %bb.192:                              ;   in Loop: Header=BB4_162 Depth=1
	s_mov_b64 s[18:19], 0
	s_mov_b64 s[20:21], 0
.LBB4_193:                              ;   Parent Loop BB4_162 Depth=1
                                        ; =>  This Inner Loop Header: Depth=2
	s_add_u32 s24, s4, s20
	s_addc_u32 s25, s5, s21
	s_add_u32 s20, s20, 1
	global_load_ubyte v2, v3, s[24:25]
	s_addc_u32 s21, s21, 0
	s_waitcnt vmcnt(0)
	v_and_b32_e32 v2, 0xffff, v2
	v_lshlrev_b64 v[18:19], s18, v[2:3]
	s_add_u32 s18, s18, 8
	s_addc_u32 s19, s19, 0
	s_cmp_lg_u32 s23, s20
	v_or_b32_e32 v16, v18, v16
	v_or_b32_e32 v17, v19, v17
	s_cbranch_scc1 .LBB4_193
.LBB4_194:                              ;   in Loop: Header=BB4_162 Depth=1
	s_mov_b32 s22, 0
	s_cbranch_execz .LBB4_196
	s_branch .LBB4_197
.LBB4_195:                              ;   in Loop: Header=BB4_162 Depth=1
                                        ; implicit-def: $sgpr22
.LBB4_196:                              ;   in Loop: Header=BB4_162 Depth=1
	global_load_dwordx2 v[16:17], v3, s[4:5]
	s_add_i32 s22, s23, -8
	s_add_u32 s4, s4, 8
	s_addc_u32 s5, s5, 0
.LBB4_197:                              ;   in Loop: Header=BB4_162 Depth=1
	s_cmp_gt_u32 s22, 7
	s_cbranch_scc1 .LBB4_202
; %bb.198:                              ;   in Loop: Header=BB4_162 Depth=1
	v_mov_b32_e32 v18, 0
	v_mov_b32_e32 v19, 0
	s_cmp_eq_u32 s22, 0
	s_cbranch_scc1 .LBB4_201
; %bb.199:                              ;   in Loop: Header=BB4_162 Depth=1
	s_mov_b64 s[18:19], 0
	s_mov_b64 s[20:21], 0
.LBB4_200:                              ;   Parent Loop BB4_162 Depth=1
                                        ; =>  This Inner Loop Header: Depth=2
	s_add_u32 s24, s4, s20
	s_addc_u32 s25, s5, s21
	s_add_u32 s20, s20, 1
	global_load_ubyte v2, v3, s[24:25]
	s_addc_u32 s21, s21, 0
	s_waitcnt vmcnt(0)
	v_and_b32_e32 v2, 0xffff, v2
	v_lshlrev_b64 v[20:21], s18, v[2:3]
	s_add_u32 s18, s18, 8
	s_addc_u32 s19, s19, 0
	s_cmp_lg_u32 s22, s20
	v_or_b32_e32 v18, v20, v18
	v_or_b32_e32 v19, v21, v19
	s_cbranch_scc1 .LBB4_200
.LBB4_201:                              ;   in Loop: Header=BB4_162 Depth=1
	s_mov_b32 s23, 0
	s_cbranch_execz .LBB4_203
	s_branch .LBB4_204
.LBB4_202:                              ;   in Loop: Header=BB4_162 Depth=1
                                        ; implicit-def: $vgpr18_vgpr19
                                        ; implicit-def: $sgpr23
.LBB4_203:                              ;   in Loop: Header=BB4_162 Depth=1
	global_load_dwordx2 v[18:19], v3, s[4:5]
	s_add_i32 s23, s22, -8
	s_add_u32 s4, s4, 8
	s_addc_u32 s5, s5, 0
.LBB4_204:                              ;   in Loop: Header=BB4_162 Depth=1
	s_cmp_gt_u32 s23, 7
	s_cbranch_scc1 .LBB4_209
; %bb.205:                              ;   in Loop: Header=BB4_162 Depth=1
	v_mov_b32_e32 v20, 0
	v_mov_b32_e32 v21, 0
	s_cmp_eq_u32 s23, 0
	s_cbranch_scc1 .LBB4_208
; %bb.206:                              ;   in Loop: Header=BB4_162 Depth=1
	s_mov_b64 s[18:19], 0
	s_mov_b64 s[20:21], s[4:5]
.LBB4_207:                              ;   Parent Loop BB4_162 Depth=1
                                        ; =>  This Inner Loop Header: Depth=2
	global_load_ubyte v2, v3, s[20:21]
	s_add_i32 s23, s23, -1
	s_waitcnt vmcnt(0)
	v_and_b32_e32 v2, 0xffff, v2
	v_lshlrev_b64 v[22:23], s18, v[2:3]
	s_add_u32 s18, s18, 8
	s_addc_u32 s19, s19, 0
	s_add_u32 s20, s20, 1
	s_addc_u32 s21, s21, 0
	s_cmp_lg_u32 s23, 0
	v_or_b32_e32 v20, v22, v20
	v_or_b32_e32 v21, v23, v21
	s_cbranch_scc1 .LBB4_207
.LBB4_208:                              ;   in Loop: Header=BB4_162 Depth=1
	s_cbranch_execz .LBB4_210
	s_branch .LBB4_211
.LBB4_209:                              ;   in Loop: Header=BB4_162 Depth=1
.LBB4_210:                              ;   in Loop: Header=BB4_162 Depth=1
	global_load_dwordx2 v[20:21], v3, s[4:5]
.LBB4_211:                              ;   in Loop: Header=BB4_162 Depth=1
	v_readfirstlane_b32 s4, v50
	v_mov_b32_e32 v26, 0
	v_mov_b32_e32 v27, 0
	v_cmp_eq_u32_e64 s4, s4, v50
	s_and_saveexec_b32 s5, s4
	s_cbranch_execz .LBB4_217
; %bb.212:                              ;   in Loop: Header=BB4_162 Depth=1
	global_load_dwordx2 v[24:25], v3, s[26:27] offset:24 glc dlc
	s_waitcnt vmcnt(0)
	buffer_gl1_inv
	buffer_gl0_inv
	s_clause 0x1
	global_load_dwordx2 v[22:23], v3, s[26:27] offset:40
	global_load_dwordx2 v[26:27], v3, s[26:27]
	s_mov_b32 s18, exec_lo
	s_waitcnt vmcnt(1)
	v_and_b32_e32 v2, v23, v25
	v_and_b32_e32 v22, v22, v24
	v_mul_lo_u32 v2, v2, 24
	v_mul_hi_u32 v23, v22, 24
	v_mul_lo_u32 v22, v22, 24
	v_add_nc_u32_e32 v2, v23, v2
	s_waitcnt vmcnt(0)
	v_add_co_u32 v22, vcc_lo, v26, v22
	v_add_co_ci_u32_e32 v23, vcc_lo, v27, v2, vcc_lo
	global_load_dwordx2 v[22:23], v[22:23], off glc dlc
	s_waitcnt vmcnt(0)
	global_atomic_cmpswap_x2 v[26:27], v3, v[22:25], s[26:27] offset:24 glc
	s_waitcnt vmcnt(0)
	buffer_gl1_inv
	buffer_gl0_inv
	v_cmpx_ne_u64_e64 v[26:27], v[24:25]
	s_cbranch_execz .LBB4_216
; %bb.213:                              ;   in Loop: Header=BB4_162 Depth=1
	s_mov_b32 s19, 0
	.p2align	6
.LBB4_214:                              ;   Parent Loop BB4_162 Depth=1
                                        ; =>  This Inner Loop Header: Depth=2
	s_sleep 1
	s_clause 0x1
	global_load_dwordx2 v[22:23], v3, s[26:27] offset:40
	global_load_dwordx2 v[28:29], v3, s[26:27]
	v_mov_b32_e32 v24, v26
	v_mov_b32_e32 v25, v27
	s_waitcnt vmcnt(1)
	v_and_b32_e32 v2, v22, v24
	v_and_b32_e32 v22, v23, v25
	s_waitcnt vmcnt(0)
	v_mad_u64_u32 v[26:27], null, v2, 24, v[28:29]
	v_mov_b32_e32 v2, v27
	v_mad_u64_u32 v[22:23], null, v22, 24, v[2:3]
	v_mov_b32_e32 v27, v22
	global_load_dwordx2 v[22:23], v[26:27], off glc dlc
	s_waitcnt vmcnt(0)
	global_atomic_cmpswap_x2 v[26:27], v3, v[22:25], s[26:27] offset:24 glc
	s_waitcnt vmcnt(0)
	buffer_gl1_inv
	buffer_gl0_inv
	v_cmp_eq_u64_e32 vcc_lo, v[26:27], v[24:25]
	s_or_b32 s19, vcc_lo, s19
	s_andn2_b32 exec_lo, exec_lo, s19
	s_cbranch_execnz .LBB4_214
; %bb.215:                              ;   in Loop: Header=BB4_162 Depth=1
	s_or_b32 exec_lo, exec_lo, s19
.LBB4_216:                              ;   in Loop: Header=BB4_162 Depth=1
	s_or_b32 exec_lo, exec_lo, s18
.LBB4_217:                              ;   in Loop: Header=BB4_162 Depth=1
	s_or_b32 exec_lo, exec_lo, s5
	s_clause 0x1
	global_load_dwordx2 v[28:29], v3, s[26:27] offset:40
	global_load_dwordx4 v[22:25], v3, s[26:27]
	v_readfirstlane_b32 s18, v26
	v_readfirstlane_b32 s19, v27
	s_mov_b32 s5, exec_lo
	s_waitcnt vmcnt(1)
	v_readfirstlane_b32 s20, v28
	v_readfirstlane_b32 s21, v29
	s_and_b64 s[20:21], s[18:19], s[20:21]
	s_mul_i32 s22, s21, 24
	s_mul_hi_u32 s23, s20, 24
	s_mul_i32 s24, s20, 24
	s_add_i32 s23, s23, s22
	s_waitcnt vmcnt(0)
	v_add_co_u32 v26, vcc_lo, v22, s24
	v_add_co_ci_u32_e32 v27, vcc_lo, s23, v23, vcc_lo
	s_and_saveexec_b32 s22, s4
	s_cbranch_execz .LBB4_219
; %bb.218:                              ;   in Loop: Header=BB4_162 Depth=1
	v_mov_b32_e32 v2, s5
	global_store_dwordx4 v[26:27], v[2:5], off offset:8
.LBB4_219:                              ;   in Loop: Header=BB4_162 Depth=1
	s_or_b32 exec_lo, exec_lo, s22
	s_lshl_b64 s[20:21], s[20:21], 12
	v_or_b32_e32 v2, 2, v6
	v_add_co_u32 v24, vcc_lo, v24, s20
	v_add_co_ci_u32_e32 v25, vcc_lo, s21, v25, vcc_lo
	v_cmp_gt_u64_e64 vcc_lo, s[10:11], 56
	s_lshl_b32 s5, s16, 2
	v_readfirstlane_b32 s20, v24
	s_add_i32 s5, s5, 28
	v_readfirstlane_b32 s21, v25
	s_and_b32 s5, s5, 0x1e0
	v_cndmask_b32_e32 v2, v2, v6, vcc_lo
	v_and_or_b32 v6, 0xffffff1f, v2, s5
	global_store_dwordx4 v39, v[10:13], s[20:21] offset:16
	global_store_dwordx4 v39, v[6:9], s[20:21]
	global_store_dwordx4 v39, v[14:17], s[20:21] offset:32
	global_store_dwordx4 v39, v[18:21], s[20:21] offset:48
	s_and_saveexec_b32 s5, s4
	s_cbranch_execz .LBB4_227
; %bb.220:                              ;   in Loop: Header=BB4_162 Depth=1
	s_clause 0x1
	global_load_dwordx2 v[14:15], v3, s[26:27] offset:32 glc dlc
	global_load_dwordx2 v[6:7], v3, s[26:27] offset:40
	v_mov_b32_e32 v12, s18
	v_mov_b32_e32 v13, s19
	s_waitcnt vmcnt(0)
	v_readfirstlane_b32 s20, v6
	v_readfirstlane_b32 s21, v7
	s_and_b64 s[20:21], s[20:21], s[18:19]
	s_mul_i32 s21, s21, 24
	s_mul_hi_u32 s22, s20, 24
	s_mul_i32 s20, s20, 24
	s_add_i32 s22, s22, s21
	v_add_co_u32 v10, vcc_lo, v22, s20
	v_add_co_ci_u32_e32 v11, vcc_lo, s22, v23, vcc_lo
	s_mov_b32 s20, exec_lo
	global_store_dwordx2 v[10:11], v[14:15], off
	s_waitcnt_vscnt null, 0x0
	global_atomic_cmpswap_x2 v[8:9], v3, v[12:15], s[26:27] offset:32 glc
	s_waitcnt vmcnt(0)
	v_cmpx_ne_u64_e64 v[8:9], v[14:15]
	s_cbranch_execz .LBB4_223
; %bb.221:                              ;   in Loop: Header=BB4_162 Depth=1
	s_mov_b32 s21, 0
.LBB4_222:                              ;   Parent Loop BB4_162 Depth=1
                                        ; =>  This Inner Loop Header: Depth=2
	v_mov_b32_e32 v6, s18
	v_mov_b32_e32 v7, s19
	s_sleep 1
	global_store_dwordx2 v[10:11], v[8:9], off
	s_waitcnt_vscnt null, 0x0
	global_atomic_cmpswap_x2 v[6:7], v3, v[6:9], s[26:27] offset:32 glc
	s_waitcnt vmcnt(0)
	v_cmp_eq_u64_e32 vcc_lo, v[6:7], v[8:9]
	v_mov_b32_e32 v9, v7
	v_mov_b32_e32 v8, v6
	s_or_b32 s21, vcc_lo, s21
	s_andn2_b32 exec_lo, exec_lo, s21
	s_cbranch_execnz .LBB4_222
.LBB4_223:                              ;   in Loop: Header=BB4_162 Depth=1
	s_or_b32 exec_lo, exec_lo, s20
	global_load_dwordx2 v[6:7], v3, s[26:27] offset:16
	s_mov_b32 s21, exec_lo
	s_mov_b32 s20, exec_lo
	v_mbcnt_lo_u32_b32 v2, s21, 0
	v_cmpx_eq_u32_e32 0, v2
	s_cbranch_execz .LBB4_225
; %bb.224:                              ;   in Loop: Header=BB4_162 Depth=1
	s_bcnt1_i32_b32 s21, s21
	v_mov_b32_e32 v2, s21
	s_waitcnt vmcnt(0)
	global_atomic_add_x2 v[6:7], v[2:3], off offset:8
.LBB4_225:                              ;   in Loop: Header=BB4_162 Depth=1
	s_or_b32 exec_lo, exec_lo, s20
	s_waitcnt vmcnt(0)
	global_load_dwordx2 v[8:9], v[6:7], off offset:16
	s_waitcnt vmcnt(0)
	v_cmp_eq_u64_e32 vcc_lo, 0, v[8:9]
	s_cbranch_vccnz .LBB4_227
; %bb.226:                              ;   in Loop: Header=BB4_162 Depth=1
	global_load_dword v2, v[6:7], off offset:24
	s_waitcnt vmcnt(0)
	v_and_b32_e32 v6, 0x7fffff, v2
	s_waitcnt_vscnt null, 0x0
	global_store_dwordx2 v[8:9], v[2:3], off
	v_readfirstlane_b32 m0, v6
	s_sendmsg sendmsg(MSG_INTERRUPT)
.LBB4_227:                              ;   in Loop: Header=BB4_162 Depth=1
	s_or_b32 exec_lo, exec_lo, s5
	v_add_co_u32 v6, vcc_lo, v24, v39
	v_add_co_ci_u32_e32 v7, vcc_lo, 0, v25, vcc_lo
	s_branch .LBB4_231
	.p2align	6
.LBB4_228:                              ;   in Loop: Header=BB4_231 Depth=2
	s_or_b32 exec_lo, exec_lo, s5
	v_readfirstlane_b32 s5, v2
	s_cmp_eq_u32 s5, 0
	s_cbranch_scc1 .LBB4_230
; %bb.229:                              ;   in Loop: Header=BB4_231 Depth=2
	s_sleep 1
	s_cbranch_execnz .LBB4_231
	s_branch .LBB4_233
	.p2align	6
.LBB4_230:                              ;   in Loop: Header=BB4_162 Depth=1
	s_branch .LBB4_233
.LBB4_231:                              ;   Parent Loop BB4_162 Depth=1
                                        ; =>  This Inner Loop Header: Depth=2
	v_mov_b32_e32 v2, 1
	s_and_saveexec_b32 s5, s4
	s_cbranch_execz .LBB4_228
; %bb.232:                              ;   in Loop: Header=BB4_231 Depth=2
	global_load_dword v2, v[26:27], off offset:20 glc dlc
	s_waitcnt vmcnt(0)
	buffer_gl1_inv
	buffer_gl0_inv
	v_and_b32_e32 v2, 1, v2
	s_branch .LBB4_228
.LBB4_233:                              ;   in Loop: Header=BB4_162 Depth=1
	global_load_dwordx4 v[6:9], v[6:7], off
	s_and_saveexec_b32 s5, s4
	s_cbranch_execz .LBB4_161
; %bb.234:                              ;   in Loop: Header=BB4_162 Depth=1
	s_clause 0x2
	global_load_dwordx2 v[10:11], v3, s[26:27] offset:40
	global_load_dwordx2 v[14:15], v3, s[26:27] offset:24 glc dlc
	global_load_dwordx2 v[12:13], v3, s[26:27]
	s_waitcnt vmcnt(2)
	v_add_co_u32 v2, vcc_lo, v10, 1
	v_add_co_ci_u32_e32 v16, vcc_lo, 0, v11, vcc_lo
	v_add_co_u32 v8, vcc_lo, v2, s18
	v_add_co_ci_u32_e32 v9, vcc_lo, s19, v16, vcc_lo
	v_cmp_eq_u64_e32 vcc_lo, 0, v[8:9]
	v_cndmask_b32_e32 v9, v9, v16, vcc_lo
	v_cndmask_b32_e32 v8, v8, v2, vcc_lo
	v_and_b32_e32 v2, v9, v11
	v_and_b32_e32 v10, v8, v10
	v_mul_lo_u32 v2, v2, 24
	v_mul_hi_u32 v11, v10, 24
	v_mul_lo_u32 v10, v10, 24
	v_add_nc_u32_e32 v2, v11, v2
	s_waitcnt vmcnt(0)
	v_add_co_u32 v12, vcc_lo, v12, v10
	v_mov_b32_e32 v10, v14
	v_mov_b32_e32 v11, v15
	v_add_co_ci_u32_e32 v13, vcc_lo, v13, v2, vcc_lo
	global_store_dwordx2 v[12:13], v[14:15], off
	s_waitcnt_vscnt null, 0x0
	global_atomic_cmpswap_x2 v[10:11], v3, v[8:11], s[26:27] offset:24 glc
	s_waitcnt vmcnt(0)
	v_cmp_ne_u64_e32 vcc_lo, v[10:11], v[14:15]
	s_and_b32 exec_lo, exec_lo, vcc_lo
	s_cbranch_execz .LBB4_161
; %bb.235:                              ;   in Loop: Header=BB4_162 Depth=1
	s_mov_b32 s4, 0
.LBB4_236:                              ;   Parent Loop BB4_162 Depth=1
                                        ; =>  This Inner Loop Header: Depth=2
	s_sleep 1
	global_store_dwordx2 v[12:13], v[10:11], off
	s_waitcnt_vscnt null, 0x0
	global_atomic_cmpswap_x2 v[14:15], v3, v[8:11], s[26:27] offset:24 glc
	s_waitcnt vmcnt(0)
	v_cmp_eq_u64_e32 vcc_lo, v[14:15], v[10:11]
	v_mov_b32_e32 v10, v14
	v_mov_b32_e32 v11, v15
	s_or_b32 s4, vcc_lo, s4
	s_andn2_b32 exec_lo, exec_lo, s4
	s_cbranch_execnz .LBB4_236
	s_branch .LBB4_161
.LBB4_237:
	s_branch .LBB4_266
.LBB4_238:
	s_cbranch_execz .LBB4_266
; %bb.239:
	v_readfirstlane_b32 s4, v50
	s_waitcnt vmcnt(0)
	v_mov_b32_e32 v8, 0
	v_mov_b32_e32 v9, 0
	v_cmp_eq_u32_e64 s4, s4, v50
	s_and_saveexec_b32 s5, s4
	s_cbranch_execz .LBB4_245
; %bb.240:
	v_mov_b32_e32 v2, 0
	s_mov_b32 s6, exec_lo
	global_load_dwordx2 v[5:6], v2, s[26:27] offset:24 glc dlc
	s_waitcnt vmcnt(0)
	buffer_gl1_inv
	buffer_gl0_inv
	s_clause 0x1
	global_load_dwordx2 v[3:4], v2, s[26:27] offset:40
	global_load_dwordx2 v[7:8], v2, s[26:27]
	s_waitcnt vmcnt(1)
	v_and_b32_e32 v4, v4, v6
	v_and_b32_e32 v3, v3, v5
	v_mul_lo_u32 v4, v4, 24
	v_mul_hi_u32 v9, v3, 24
	v_mul_lo_u32 v3, v3, 24
	v_add_nc_u32_e32 v4, v9, v4
	s_waitcnt vmcnt(0)
	v_add_co_u32 v3, vcc_lo, v7, v3
	v_add_co_ci_u32_e32 v4, vcc_lo, v8, v4, vcc_lo
	global_load_dwordx2 v[3:4], v[3:4], off glc dlc
	s_waitcnt vmcnt(0)
	global_atomic_cmpswap_x2 v[8:9], v2, v[3:6], s[26:27] offset:24 glc
	s_waitcnt vmcnt(0)
	buffer_gl1_inv
	buffer_gl0_inv
	v_cmpx_ne_u64_e64 v[8:9], v[5:6]
	s_cbranch_execz .LBB4_244
; %bb.241:
	s_mov_b32 s7, 0
	.p2align	6
.LBB4_242:                              ; =>This Inner Loop Header: Depth=1
	s_sleep 1
	s_clause 0x1
	global_load_dwordx2 v[3:4], v2, s[26:27] offset:40
	global_load_dwordx2 v[10:11], v2, s[26:27]
	v_mov_b32_e32 v5, v8
	v_mov_b32_e32 v6, v9
	s_waitcnt vmcnt(1)
	v_and_b32_e32 v3, v3, v5
	v_and_b32_e32 v4, v4, v6
	s_waitcnt vmcnt(0)
	v_mad_u64_u32 v[7:8], null, v3, 24, v[10:11]
	v_mov_b32_e32 v3, v8
	v_mad_u64_u32 v[3:4], null, v4, 24, v[3:4]
	v_mov_b32_e32 v8, v3
	global_load_dwordx2 v[3:4], v[7:8], off glc dlc
	s_waitcnt vmcnt(0)
	global_atomic_cmpswap_x2 v[8:9], v2, v[3:6], s[26:27] offset:24 glc
	s_waitcnt vmcnt(0)
	buffer_gl1_inv
	buffer_gl0_inv
	v_cmp_eq_u64_e32 vcc_lo, v[8:9], v[5:6]
	s_or_b32 s7, vcc_lo, s7
	s_andn2_b32 exec_lo, exec_lo, s7
	s_cbranch_execnz .LBB4_242
; %bb.243:
	s_or_b32 exec_lo, exec_lo, s7
.LBB4_244:
	s_or_b32 exec_lo, exec_lo, s6
.LBB4_245:
	s_or_b32 exec_lo, exec_lo, s5
	v_mov_b32_e32 v2, 0
	v_readfirstlane_b32 s6, v8
	v_readfirstlane_b32 s7, v9
	s_mov_b32 s5, exec_lo
	s_clause 0x1
	global_load_dwordx2 v[10:11], v2, s[26:27] offset:40
	global_load_dwordx4 v[4:7], v2, s[26:27]
	s_waitcnt vmcnt(1)
	v_readfirstlane_b32 s10, v10
	v_readfirstlane_b32 s11, v11
	s_and_b64 s[10:11], s[6:7], s[10:11]
	s_mul_i32 s16, s11, 24
	s_mul_hi_u32 s17, s10, 24
	s_mul_i32 s18, s10, 24
	s_add_i32 s17, s17, s16
	s_waitcnt vmcnt(0)
	v_add_co_u32 v8, vcc_lo, v4, s18
	v_add_co_ci_u32_e32 v9, vcc_lo, s17, v5, vcc_lo
	s_and_saveexec_b32 s16, s4
	s_cbranch_execz .LBB4_247
; %bb.246:
	v_mov_b32_e32 v10, s5
	v_mov_b32_e32 v11, v2
	v_mov_b32_e32 v12, 2
	v_mov_b32_e32 v13, 1
	global_store_dwordx4 v[8:9], v[10:13], off offset:8
.LBB4_247:
	s_or_b32 exec_lo, exec_lo, s16
	s_lshl_b64 s[10:11], s[10:11], 12
	s_mov_b32 s16, 0
	v_add_co_u32 v6, vcc_lo, v6, s10
	v_add_co_ci_u32_e32 v7, vcc_lo, s11, v7, vcc_lo
	s_mov_b32 s17, s16
	s_mov_b32 s18, s16
	;; [unrolled: 1-line block ×3, first 2 shown]
	v_and_or_b32 v0, 0xffffff1d, v0, 34
	v_mov_b32_e32 v3, v2
	v_readfirstlane_b32 s10, v6
	v_readfirstlane_b32 s11, v7
	v_mov_b32_e32 v10, s16
	v_mov_b32_e32 v11, s17
	;; [unrolled: 1-line block ×4, first 2 shown]
	global_store_dwordx4 v39, v[0:3], s[10:11]
	global_store_dwordx4 v39, v[10:13], s[10:11] offset:16
	global_store_dwordx4 v39, v[10:13], s[10:11] offset:32
	;; [unrolled: 1-line block ×3, first 2 shown]
	s_and_saveexec_b32 s5, s4
	s_cbranch_execz .LBB4_255
; %bb.248:
	v_mov_b32_e32 v6, 0
	v_mov_b32_e32 v10, s6
	;; [unrolled: 1-line block ×3, first 2 shown]
	s_clause 0x1
	global_load_dwordx2 v[12:13], v6, s[26:27] offset:32 glc dlc
	global_load_dwordx2 v[0:1], v6, s[26:27] offset:40
	s_waitcnt vmcnt(0)
	v_readfirstlane_b32 s10, v0
	v_readfirstlane_b32 s11, v1
	s_and_b64 s[10:11], s[10:11], s[6:7]
	s_mul_i32 s11, s11, 24
	s_mul_hi_u32 s16, s10, 24
	s_mul_i32 s10, s10, 24
	s_add_i32 s16, s16, s11
	v_add_co_u32 v4, vcc_lo, v4, s10
	v_add_co_ci_u32_e32 v5, vcc_lo, s16, v5, vcc_lo
	s_mov_b32 s10, exec_lo
	global_store_dwordx2 v[4:5], v[12:13], off
	s_waitcnt_vscnt null, 0x0
	global_atomic_cmpswap_x2 v[2:3], v6, v[10:13], s[26:27] offset:32 glc
	s_waitcnt vmcnt(0)
	v_cmpx_ne_u64_e64 v[2:3], v[12:13]
	s_cbranch_execz .LBB4_251
; %bb.249:
	s_mov_b32 s11, 0
.LBB4_250:                              ; =>This Inner Loop Header: Depth=1
	v_mov_b32_e32 v0, s6
	v_mov_b32_e32 v1, s7
	s_sleep 1
	global_store_dwordx2 v[4:5], v[2:3], off
	s_waitcnt_vscnt null, 0x0
	global_atomic_cmpswap_x2 v[0:1], v6, v[0:3], s[26:27] offset:32 glc
	s_waitcnt vmcnt(0)
	v_cmp_eq_u64_e32 vcc_lo, v[0:1], v[2:3]
	v_mov_b32_e32 v3, v1
	v_mov_b32_e32 v2, v0
	s_or_b32 s11, vcc_lo, s11
	s_andn2_b32 exec_lo, exec_lo, s11
	s_cbranch_execnz .LBB4_250
.LBB4_251:
	s_or_b32 exec_lo, exec_lo, s10
	v_mov_b32_e32 v3, 0
	s_mov_b32 s11, exec_lo
	s_mov_b32 s10, exec_lo
	v_mbcnt_lo_u32_b32 v2, s11, 0
	global_load_dwordx2 v[0:1], v3, s[26:27] offset:16
	v_cmpx_eq_u32_e32 0, v2
	s_cbranch_execz .LBB4_253
; %bb.252:
	s_bcnt1_i32_b32 s11, s11
	v_mov_b32_e32 v2, s11
	s_waitcnt vmcnt(0)
	global_atomic_add_x2 v[0:1], v[2:3], off offset:8
.LBB4_253:
	s_or_b32 exec_lo, exec_lo, s10
	s_waitcnt vmcnt(0)
	global_load_dwordx2 v[2:3], v[0:1], off offset:16
	s_waitcnt vmcnt(0)
	v_cmp_eq_u64_e32 vcc_lo, 0, v[2:3]
	s_cbranch_vccnz .LBB4_255
; %bb.254:
	global_load_dword v0, v[0:1], off offset:24
	v_mov_b32_e32 v1, 0
	s_waitcnt vmcnt(0)
	v_and_b32_e32 v4, 0x7fffff, v0
	s_waitcnt_vscnt null, 0x0
	global_store_dwordx2 v[2:3], v[0:1], off
	v_readfirstlane_b32 m0, v4
	s_sendmsg sendmsg(MSG_INTERRUPT)
.LBB4_255:
	s_or_b32 exec_lo, exec_lo, s5
	s_branch .LBB4_259
	.p2align	6
.LBB4_256:                              ;   in Loop: Header=BB4_259 Depth=1
	s_or_b32 exec_lo, exec_lo, s5
	v_readfirstlane_b32 s5, v0
	s_cmp_eq_u32 s5, 0
	s_cbranch_scc1 .LBB4_258
; %bb.257:                              ;   in Loop: Header=BB4_259 Depth=1
	s_sleep 1
	s_cbranch_execnz .LBB4_259
	s_branch .LBB4_261
	.p2align	6
.LBB4_258:
	s_branch .LBB4_261
.LBB4_259:                              ; =>This Inner Loop Header: Depth=1
	v_mov_b32_e32 v0, 1
	s_and_saveexec_b32 s5, s4
	s_cbranch_execz .LBB4_256
; %bb.260:                              ;   in Loop: Header=BB4_259 Depth=1
	global_load_dword v0, v[8:9], off offset:20 glc dlc
	s_waitcnt vmcnt(0)
	buffer_gl1_inv
	buffer_gl0_inv
	v_and_b32_e32 v0, 1, v0
	s_branch .LBB4_256
.LBB4_261:
	s_and_saveexec_b32 s5, s4
	s_cbranch_execz .LBB4_265
; %bb.262:
	v_mov_b32_e32 v6, 0
	s_clause 0x2
	global_load_dwordx2 v[2:3], v6, s[26:27] offset:40
	global_load_dwordx2 v[7:8], v6, s[26:27] offset:24 glc dlc
	global_load_dwordx2 v[4:5], v6, s[26:27]
	s_waitcnt vmcnt(2)
	v_add_co_u32 v9, vcc_lo, v2, 1
	v_add_co_ci_u32_e32 v10, vcc_lo, 0, v3, vcc_lo
	v_add_co_u32 v0, vcc_lo, v9, s6
	v_add_co_ci_u32_e32 v1, vcc_lo, s7, v10, vcc_lo
	v_cmp_eq_u64_e32 vcc_lo, 0, v[0:1]
	v_cndmask_b32_e32 v1, v1, v10, vcc_lo
	v_cndmask_b32_e32 v0, v0, v9, vcc_lo
	v_and_b32_e32 v3, v1, v3
	v_and_b32_e32 v2, v0, v2
	v_mul_lo_u32 v3, v3, 24
	v_mul_hi_u32 v9, v2, 24
	v_mul_lo_u32 v2, v2, 24
	v_add_nc_u32_e32 v3, v9, v3
	s_waitcnt vmcnt(0)
	v_add_co_u32 v4, vcc_lo, v4, v2
	v_mov_b32_e32 v2, v7
	v_add_co_ci_u32_e32 v5, vcc_lo, v5, v3, vcc_lo
	v_mov_b32_e32 v3, v8
	global_store_dwordx2 v[4:5], v[7:8], off
	s_waitcnt_vscnt null, 0x0
	global_atomic_cmpswap_x2 v[2:3], v6, v[0:3], s[26:27] offset:24 glc
	s_waitcnt vmcnt(0)
	v_cmp_ne_u64_e32 vcc_lo, v[2:3], v[7:8]
	s_and_b32 exec_lo, exec_lo, vcc_lo
	s_cbranch_execz .LBB4_265
; %bb.263:
	s_mov_b32 s4, 0
.LBB4_264:                              ; =>This Inner Loop Header: Depth=1
	s_sleep 1
	global_store_dwordx2 v[4:5], v[2:3], off
	s_waitcnt_vscnt null, 0x0
	global_atomic_cmpswap_x2 v[7:8], v6, v[0:3], s[26:27] offset:24 glc
	s_waitcnt vmcnt(0)
	v_cmp_eq_u64_e32 vcc_lo, v[7:8], v[2:3]
	v_mov_b32_e32 v2, v7
	v_mov_b32_e32 v3, v8
	s_or_b32 s4, vcc_lo, s4
	s_andn2_b32 exec_lo, exec_lo, s4
	s_cbranch_execnz .LBB4_264
.LBB4_265:
	s_or_b32 exec_lo, exec_lo, s5
.LBB4_266:
	v_readfirstlane_b32 s4, v50
	s_waitcnt vmcnt(0)
	v_mov_b32_e32 v6, 0
	v_mov_b32_e32 v7, 0
	v_cmp_eq_u32_e64 s4, s4, v50
	s_and_saveexec_b32 s5, s4
	s_cbranch_execz .LBB4_272
; %bb.267:
	v_mov_b32_e32 v0, 0
	s_mov_b32 s6, exec_lo
	global_load_dwordx2 v[3:4], v0, s[26:27] offset:24 glc dlc
	s_waitcnt vmcnt(0)
	buffer_gl1_inv
	buffer_gl0_inv
	s_clause 0x1
	global_load_dwordx2 v[1:2], v0, s[26:27] offset:40
	global_load_dwordx2 v[5:6], v0, s[26:27]
	s_waitcnt vmcnt(1)
	v_and_b32_e32 v2, v2, v4
	v_and_b32_e32 v1, v1, v3
	v_mul_lo_u32 v2, v2, 24
	v_mul_hi_u32 v7, v1, 24
	v_mul_lo_u32 v1, v1, 24
	v_add_nc_u32_e32 v2, v7, v2
	s_waitcnt vmcnt(0)
	v_add_co_u32 v1, vcc_lo, v5, v1
	v_add_co_ci_u32_e32 v2, vcc_lo, v6, v2, vcc_lo
	global_load_dwordx2 v[1:2], v[1:2], off glc dlc
	s_waitcnt vmcnt(0)
	global_atomic_cmpswap_x2 v[6:7], v0, v[1:4], s[26:27] offset:24 glc
	s_waitcnt vmcnt(0)
	buffer_gl1_inv
	buffer_gl0_inv
	v_cmpx_ne_u64_e64 v[6:7], v[3:4]
	s_cbranch_execz .LBB4_271
; %bb.268:
	s_mov_b32 s7, 0
	.p2align	6
.LBB4_269:                              ; =>This Inner Loop Header: Depth=1
	s_sleep 1
	s_clause 0x1
	global_load_dwordx2 v[1:2], v0, s[26:27] offset:40
	global_load_dwordx2 v[8:9], v0, s[26:27]
	v_mov_b32_e32 v3, v6
	v_mov_b32_e32 v4, v7
	s_waitcnt vmcnt(1)
	v_and_b32_e32 v1, v1, v3
	v_and_b32_e32 v2, v2, v4
	s_waitcnt vmcnt(0)
	v_mad_u64_u32 v[5:6], null, v1, 24, v[8:9]
	v_mov_b32_e32 v1, v6
	v_mad_u64_u32 v[1:2], null, v2, 24, v[1:2]
	v_mov_b32_e32 v6, v1
	global_load_dwordx2 v[1:2], v[5:6], off glc dlc
	s_waitcnt vmcnt(0)
	global_atomic_cmpswap_x2 v[6:7], v0, v[1:4], s[26:27] offset:24 glc
	s_waitcnt vmcnt(0)
	buffer_gl1_inv
	buffer_gl0_inv
	v_cmp_eq_u64_e32 vcc_lo, v[6:7], v[3:4]
	s_or_b32 s7, vcc_lo, s7
	s_andn2_b32 exec_lo, exec_lo, s7
	s_cbranch_execnz .LBB4_269
; %bb.270:
	s_or_b32 exec_lo, exec_lo, s7
.LBB4_271:
	s_or_b32 exec_lo, exec_lo, s6
.LBB4_272:
	s_or_b32 exec_lo, exec_lo, s5
	v_mov_b32_e32 v5, 0
	v_readfirstlane_b32 s6, v6
	v_readfirstlane_b32 s7, v7
	s_mov_b32 s5, exec_lo
	s_clause 0x1
	global_load_dwordx2 v[8:9], v5, s[26:27] offset:40
	global_load_dwordx4 v[0:3], v5, s[26:27]
	s_waitcnt vmcnt(1)
	v_readfirstlane_b32 s10, v8
	v_readfirstlane_b32 s11, v9
	s_and_b64 s[10:11], s[6:7], s[10:11]
	s_mul_i32 s16, s11, 24
	s_mul_hi_u32 s17, s10, 24
	s_mul_i32 s18, s10, 24
	s_add_i32 s17, s17, s16
	s_waitcnt vmcnt(0)
	v_add_co_u32 v8, vcc_lo, v0, s18
	v_add_co_ci_u32_e32 v9, vcc_lo, s17, v1, vcc_lo
	s_and_saveexec_b32 s16, s4
	s_cbranch_execz .LBB4_274
; %bb.273:
	v_mov_b32_e32 v4, s5
	v_mov_b32_e32 v6, 2
	;; [unrolled: 1-line block ×3, first 2 shown]
	global_store_dwordx4 v[8:9], v[4:7], off offset:8
.LBB4_274:
	s_or_b32 exec_lo, exec_lo, s16
	s_lshl_b64 s[10:11], s[10:11], 12
	s_mov_b32 s16, 0
	v_add_co_u32 v2, vcc_lo, v2, s10
	v_add_co_ci_u32_e32 v3, vcc_lo, s11, v3, vcc_lo
	s_mov_b32 s17, s16
	v_add_co_u32 v10, vcc_lo, v2, v39
	s_mov_b32 s18, s16
	s_mov_b32 s19, s16
	v_mov_b32_e32 v4, 33
	v_mov_b32_e32 v6, v5
	;; [unrolled: 1-line block ×3, first 2 shown]
	v_readfirstlane_b32 s10, v2
	v_readfirstlane_b32 s11, v3
	v_mov_b32_e32 v12, s16
	v_add_co_ci_u32_e32 v11, vcc_lo, 0, v3, vcc_lo
	v_mov_b32_e32 v13, s17
	v_mov_b32_e32 v14, s18
	;; [unrolled: 1-line block ×3, first 2 shown]
	global_store_dwordx4 v39, v[4:7], s[10:11]
	global_store_dwordx4 v39, v[12:15], s[10:11] offset:16
	global_store_dwordx4 v39, v[12:15], s[10:11] offset:32
	;; [unrolled: 1-line block ×3, first 2 shown]
	s_and_saveexec_b32 s5, s4
	s_cbranch_execz .LBB4_282
; %bb.275:
	v_mov_b32_e32 v6, 0
	v_mov_b32_e32 v12, s6
	;; [unrolled: 1-line block ×3, first 2 shown]
	s_clause 0x1
	global_load_dwordx2 v[14:15], v6, s[26:27] offset:32 glc dlc
	global_load_dwordx2 v[2:3], v6, s[26:27] offset:40
	s_waitcnt vmcnt(0)
	v_readfirstlane_b32 s10, v2
	v_readfirstlane_b32 s11, v3
	s_and_b64 s[10:11], s[10:11], s[6:7]
	s_mul_i32 s11, s11, 24
	s_mul_hi_u32 s16, s10, 24
	s_mul_i32 s10, s10, 24
	s_add_i32 s16, s16, s11
	v_add_co_u32 v4, vcc_lo, v0, s10
	v_add_co_ci_u32_e32 v5, vcc_lo, s16, v1, vcc_lo
	s_mov_b32 s10, exec_lo
	global_store_dwordx2 v[4:5], v[14:15], off
	s_waitcnt_vscnt null, 0x0
	global_atomic_cmpswap_x2 v[2:3], v6, v[12:15], s[26:27] offset:32 glc
	s_waitcnt vmcnt(0)
	v_cmpx_ne_u64_e64 v[2:3], v[14:15]
	s_cbranch_execz .LBB4_278
; %bb.276:
	s_mov_b32 s11, 0
.LBB4_277:                              ; =>This Inner Loop Header: Depth=1
	v_mov_b32_e32 v0, s6
	v_mov_b32_e32 v1, s7
	s_sleep 1
	global_store_dwordx2 v[4:5], v[2:3], off
	s_waitcnt_vscnt null, 0x0
	global_atomic_cmpswap_x2 v[0:1], v6, v[0:3], s[26:27] offset:32 glc
	s_waitcnt vmcnt(0)
	v_cmp_eq_u64_e32 vcc_lo, v[0:1], v[2:3]
	v_mov_b32_e32 v3, v1
	v_mov_b32_e32 v2, v0
	s_or_b32 s11, vcc_lo, s11
	s_andn2_b32 exec_lo, exec_lo, s11
	s_cbranch_execnz .LBB4_277
.LBB4_278:
	s_or_b32 exec_lo, exec_lo, s10
	v_mov_b32_e32 v3, 0
	s_mov_b32 s11, exec_lo
	s_mov_b32 s10, exec_lo
	v_mbcnt_lo_u32_b32 v2, s11, 0
	global_load_dwordx2 v[0:1], v3, s[26:27] offset:16
	v_cmpx_eq_u32_e32 0, v2
	s_cbranch_execz .LBB4_280
; %bb.279:
	s_bcnt1_i32_b32 s11, s11
	v_mov_b32_e32 v2, s11
	s_waitcnt vmcnt(0)
	global_atomic_add_x2 v[0:1], v[2:3], off offset:8
.LBB4_280:
	s_or_b32 exec_lo, exec_lo, s10
	s_waitcnt vmcnt(0)
	global_load_dwordx2 v[2:3], v[0:1], off offset:16
	s_waitcnt vmcnt(0)
	v_cmp_eq_u64_e32 vcc_lo, 0, v[2:3]
	s_cbranch_vccnz .LBB4_282
; %bb.281:
	global_load_dword v0, v[0:1], off offset:24
	v_mov_b32_e32 v1, 0
	s_waitcnt vmcnt(0)
	v_and_b32_e32 v4, 0x7fffff, v0
	s_waitcnt_vscnt null, 0x0
	global_store_dwordx2 v[2:3], v[0:1], off
	v_readfirstlane_b32 m0, v4
	s_sendmsg sendmsg(MSG_INTERRUPT)
.LBB4_282:
	s_or_b32 exec_lo, exec_lo, s5
	s_branch .LBB4_286
	.p2align	6
.LBB4_283:                              ;   in Loop: Header=BB4_286 Depth=1
	s_or_b32 exec_lo, exec_lo, s5
	v_readfirstlane_b32 s5, v0
	s_cmp_eq_u32 s5, 0
	s_cbranch_scc1 .LBB4_285
; %bb.284:                              ;   in Loop: Header=BB4_286 Depth=1
	s_sleep 1
	s_cbranch_execnz .LBB4_286
	s_branch .LBB4_288
	.p2align	6
.LBB4_285:
	s_branch .LBB4_288
.LBB4_286:                              ; =>This Inner Loop Header: Depth=1
	v_mov_b32_e32 v0, 1
	s_and_saveexec_b32 s5, s4
	s_cbranch_execz .LBB4_283
; %bb.287:                              ;   in Loop: Header=BB4_286 Depth=1
	global_load_dword v0, v[8:9], off offset:20 glc dlc
	s_waitcnt vmcnt(0)
	buffer_gl1_inv
	buffer_gl0_inv
	v_and_b32_e32 v0, 1, v0
	s_branch .LBB4_283
.LBB4_288:
	global_load_dwordx2 v[0:1], v[10:11], off
	s_and_saveexec_b32 s5, s4
	s_cbranch_execz .LBB4_292
; %bb.289:
	v_mov_b32_e32 v8, 0
	s_clause 0x2
	global_load_dwordx2 v[4:5], v8, s[26:27] offset:40
	global_load_dwordx2 v[9:10], v8, s[26:27] offset:24 glc dlc
	global_load_dwordx2 v[6:7], v8, s[26:27]
	s_waitcnt vmcnt(2)
	v_add_co_u32 v11, vcc_lo, v4, 1
	v_add_co_ci_u32_e32 v12, vcc_lo, 0, v5, vcc_lo
	v_add_co_u32 v2, vcc_lo, v11, s6
	v_add_co_ci_u32_e32 v3, vcc_lo, s7, v12, vcc_lo
	v_cmp_eq_u64_e32 vcc_lo, 0, v[2:3]
	v_cndmask_b32_e32 v3, v3, v12, vcc_lo
	v_cndmask_b32_e32 v2, v2, v11, vcc_lo
	v_and_b32_e32 v5, v3, v5
	v_and_b32_e32 v4, v2, v4
	v_mul_lo_u32 v5, v5, 24
	v_mul_hi_u32 v11, v4, 24
	v_mul_lo_u32 v4, v4, 24
	v_add_nc_u32_e32 v5, v11, v5
	s_waitcnt vmcnt(0)
	v_add_co_u32 v6, vcc_lo, v6, v4
	v_mov_b32_e32 v4, v9
	v_add_co_ci_u32_e32 v7, vcc_lo, v7, v5, vcc_lo
	v_mov_b32_e32 v5, v10
	global_store_dwordx2 v[6:7], v[9:10], off
	s_waitcnt_vscnt null, 0x0
	global_atomic_cmpswap_x2 v[4:5], v8, v[2:5], s[26:27] offset:24 glc
	s_waitcnt vmcnt(0)
	v_cmp_ne_u64_e32 vcc_lo, v[4:5], v[9:10]
	s_and_b32 exec_lo, exec_lo, vcc_lo
	s_cbranch_execz .LBB4_292
; %bb.290:
	s_mov_b32 s4, 0
.LBB4_291:                              ; =>This Inner Loop Header: Depth=1
	s_sleep 1
	global_store_dwordx2 v[6:7], v[4:5], off
	s_waitcnt_vscnt null, 0x0
	global_atomic_cmpswap_x2 v[9:10], v8, v[2:5], s[26:27] offset:24 glc
	s_waitcnt vmcnt(0)
	v_cmp_eq_u64_e32 vcc_lo, v[9:10], v[4:5]
	v_mov_b32_e32 v4, v9
	v_mov_b32_e32 v5, v10
	s_or_b32 s4, vcc_lo, s4
	s_andn2_b32 exec_lo, exec_lo, s4
	s_cbranch_execnz .LBB4_291
.LBB4_292:
	s_or_b32 exec_lo, exec_lo, s5
	s_getpc_b64 s[6:7]
	s_add_u32 s6, s6, .str.6@rel32@lo+4
	s_addc_u32 s7, s7, .str.6@rel32@hi+12
	s_cmp_lg_u64 s[6:7], 0
	s_cselect_b32 s35, -1, 0
	s_and_b32 vcc_lo, exec_lo, s35
	s_cbranch_vccz .LBB4_371
; %bb.293:
	s_waitcnt vmcnt(0)
	v_and_b32_e32 v31, 2, v0
	v_mov_b32_e32 v6, 0
	v_and_b32_e32 v2, -3, v0
	v_mov_b32_e32 v3, v1
	v_mov_b32_e32 v7, 2
	;; [unrolled: 1-line block ×3, first 2 shown]
	s_mov_b64 s[10:11], 3
	s_branch .LBB4_295
.LBB4_294:                              ;   in Loop: Header=BB4_295 Depth=1
	s_or_b32 exec_lo, exec_lo, s5
	s_sub_u32 s10, s10, s16
	s_subb_u32 s11, s11, s17
	s_add_u32 s6, s6, s16
	s_addc_u32 s7, s7, s17
	s_cmp_lg_u64 s[10:11], 0
	s_cbranch_scc0 .LBB4_370
.LBB4_295:                              ; =>This Loop Header: Depth=1
                                        ;     Child Loop BB4_304 Depth 2
                                        ;     Child Loop BB4_300 Depth 2
	;; [unrolled: 1-line block ×11, first 2 shown]
	v_cmp_lt_u64_e64 s4, s[10:11], 56
	v_cmp_gt_u64_e64 s5, s[10:11], 7
                                        ; implicit-def: $vgpr11_vgpr12
                                        ; implicit-def: $sgpr22
	s_and_b32 s4, s4, exec_lo
	s_cselect_b32 s17, s11, 0
	s_cselect_b32 s16, s10, 56
	s_and_b32 vcc_lo, exec_lo, s5
	s_mov_b32 s4, -1
	s_cbranch_vccz .LBB4_302
; %bb.296:                              ;   in Loop: Header=BB4_295 Depth=1
	s_andn2_b32 vcc_lo, exec_lo, s4
	s_mov_b64 s[4:5], s[6:7]
	s_cbranch_vccz .LBB4_306
.LBB4_297:                              ;   in Loop: Header=BB4_295 Depth=1
	s_cmp_gt_u32 s22, 7
	s_cbranch_scc1 .LBB4_307
.LBB4_298:                              ;   in Loop: Header=BB4_295 Depth=1
	v_mov_b32_e32 v13, 0
	v_mov_b32_e32 v14, 0
	s_cmp_eq_u32 s22, 0
	s_cbranch_scc1 .LBB4_301
; %bb.299:                              ;   in Loop: Header=BB4_295 Depth=1
	s_mov_b64 s[18:19], 0
	s_mov_b64 s[20:21], 0
.LBB4_300:                              ;   Parent Loop BB4_295 Depth=1
                                        ; =>  This Inner Loop Header: Depth=2
	s_add_u32 s24, s4, s20
	s_addc_u32 s25, s5, s21
	s_add_u32 s20, s20, 1
	global_load_ubyte v4, v6, s[24:25]
	s_addc_u32 s21, s21, 0
	s_waitcnt vmcnt(0)
	v_and_b32_e32 v5, 0xffff, v4
	v_lshlrev_b64 v[4:5], s18, v[5:6]
	s_add_u32 s18, s18, 8
	s_addc_u32 s19, s19, 0
	s_cmp_lg_u32 s22, s20
	v_or_b32_e32 v13, v4, v13
	v_or_b32_e32 v14, v5, v14
	s_cbranch_scc1 .LBB4_300
.LBB4_301:                              ;   in Loop: Header=BB4_295 Depth=1
	s_mov_b32 s23, 0
	s_cbranch_execz .LBB4_308
	s_branch .LBB4_309
.LBB4_302:                              ;   in Loop: Header=BB4_295 Depth=1
	v_mov_b32_e32 v11, 0
	v_mov_b32_e32 v12, 0
	s_cmp_eq_u64 s[10:11], 0
	s_mov_b64 s[4:5], 0
	s_cbranch_scc1 .LBB4_305
; %bb.303:                              ;   in Loop: Header=BB4_295 Depth=1
	v_mov_b32_e32 v11, 0
	v_mov_b32_e32 v12, 0
	s_lshl_b64 s[18:19], s[16:17], 3
	s_mov_b64 s[20:21], s[6:7]
.LBB4_304:                              ;   Parent Loop BB4_295 Depth=1
                                        ; =>  This Inner Loop Header: Depth=2
	global_load_ubyte v4, v6, s[20:21]
	s_waitcnt vmcnt(0)
	v_and_b32_e32 v5, 0xffff, v4
	v_lshlrev_b64 v[4:5], s4, v[5:6]
	s_add_u32 s4, s4, 8
	s_addc_u32 s5, s5, 0
	s_add_u32 s20, s20, 1
	s_addc_u32 s21, s21, 0
	s_cmp_lg_u32 s18, s4
	v_or_b32_e32 v11, v4, v11
	v_or_b32_e32 v12, v5, v12
	s_cbranch_scc1 .LBB4_304
.LBB4_305:                              ;   in Loop: Header=BB4_295 Depth=1
	s_mov_b32 s22, 0
	s_mov_b64 s[4:5], s[6:7]
	s_cbranch_execnz .LBB4_297
.LBB4_306:                              ;   in Loop: Header=BB4_295 Depth=1
	global_load_dwordx2 v[11:12], v6, s[6:7]
	s_add_i32 s22, s16, -8
	s_add_u32 s4, s6, 8
	s_addc_u32 s5, s7, 0
	s_cmp_gt_u32 s22, 7
	s_cbranch_scc0 .LBB4_298
.LBB4_307:                              ;   in Loop: Header=BB4_295 Depth=1
                                        ; implicit-def: $vgpr13_vgpr14
                                        ; implicit-def: $sgpr23
.LBB4_308:                              ;   in Loop: Header=BB4_295 Depth=1
	global_load_dwordx2 v[13:14], v6, s[4:5]
	s_add_i32 s23, s22, -8
	s_add_u32 s4, s4, 8
	s_addc_u32 s5, s5, 0
.LBB4_309:                              ;   in Loop: Header=BB4_295 Depth=1
	s_cmp_gt_u32 s23, 7
	s_cbranch_scc1 .LBB4_314
; %bb.310:                              ;   in Loop: Header=BB4_295 Depth=1
	v_mov_b32_e32 v15, 0
	v_mov_b32_e32 v16, 0
	s_cmp_eq_u32 s23, 0
	s_cbranch_scc1 .LBB4_313
; %bb.311:                              ;   in Loop: Header=BB4_295 Depth=1
	s_mov_b64 s[18:19], 0
	s_mov_b64 s[20:21], 0
.LBB4_312:                              ;   Parent Loop BB4_295 Depth=1
                                        ; =>  This Inner Loop Header: Depth=2
	s_add_u32 s24, s4, s20
	s_addc_u32 s25, s5, s21
	s_add_u32 s20, s20, 1
	global_load_ubyte v4, v6, s[24:25]
	s_addc_u32 s21, s21, 0
	s_waitcnt vmcnt(0)
	v_and_b32_e32 v5, 0xffff, v4
	v_lshlrev_b64 v[4:5], s18, v[5:6]
	s_add_u32 s18, s18, 8
	s_addc_u32 s19, s19, 0
	s_cmp_lg_u32 s23, s20
	v_or_b32_e32 v15, v4, v15
	v_or_b32_e32 v16, v5, v16
	s_cbranch_scc1 .LBB4_312
.LBB4_313:                              ;   in Loop: Header=BB4_295 Depth=1
	s_mov_b32 s22, 0
	s_cbranch_execz .LBB4_315
	s_branch .LBB4_316
.LBB4_314:                              ;   in Loop: Header=BB4_295 Depth=1
                                        ; implicit-def: $sgpr22
.LBB4_315:                              ;   in Loop: Header=BB4_295 Depth=1
	global_load_dwordx2 v[15:16], v6, s[4:5]
	s_add_i32 s22, s23, -8
	s_add_u32 s4, s4, 8
	s_addc_u32 s5, s5, 0
.LBB4_316:                              ;   in Loop: Header=BB4_295 Depth=1
	s_cmp_gt_u32 s22, 7
	s_cbranch_scc1 .LBB4_321
; %bb.317:                              ;   in Loop: Header=BB4_295 Depth=1
	v_mov_b32_e32 v17, 0
	v_mov_b32_e32 v18, 0
	s_cmp_eq_u32 s22, 0
	s_cbranch_scc1 .LBB4_320
; %bb.318:                              ;   in Loop: Header=BB4_295 Depth=1
	s_mov_b64 s[18:19], 0
	s_mov_b64 s[20:21], 0
.LBB4_319:                              ;   Parent Loop BB4_295 Depth=1
                                        ; =>  This Inner Loop Header: Depth=2
	s_add_u32 s24, s4, s20
	s_addc_u32 s25, s5, s21
	s_add_u32 s20, s20, 1
	global_load_ubyte v4, v6, s[24:25]
	s_addc_u32 s21, s21, 0
	s_waitcnt vmcnt(0)
	v_and_b32_e32 v5, 0xffff, v4
	v_lshlrev_b64 v[4:5], s18, v[5:6]
	s_add_u32 s18, s18, 8
	s_addc_u32 s19, s19, 0
	s_cmp_lg_u32 s22, s20
	v_or_b32_e32 v17, v4, v17
	v_or_b32_e32 v18, v5, v18
	s_cbranch_scc1 .LBB4_319
.LBB4_320:                              ;   in Loop: Header=BB4_295 Depth=1
	s_mov_b32 s23, 0
	s_cbranch_execz .LBB4_322
	s_branch .LBB4_323
.LBB4_321:                              ;   in Loop: Header=BB4_295 Depth=1
                                        ; implicit-def: $vgpr17_vgpr18
                                        ; implicit-def: $sgpr23
.LBB4_322:                              ;   in Loop: Header=BB4_295 Depth=1
	global_load_dwordx2 v[17:18], v6, s[4:5]
	s_add_i32 s23, s22, -8
	s_add_u32 s4, s4, 8
	s_addc_u32 s5, s5, 0
.LBB4_323:                              ;   in Loop: Header=BB4_295 Depth=1
	s_cmp_gt_u32 s23, 7
	s_cbranch_scc1 .LBB4_328
; %bb.324:                              ;   in Loop: Header=BB4_295 Depth=1
	v_mov_b32_e32 v19, 0
	v_mov_b32_e32 v20, 0
	s_cmp_eq_u32 s23, 0
	s_cbranch_scc1 .LBB4_327
; %bb.325:                              ;   in Loop: Header=BB4_295 Depth=1
	s_mov_b64 s[18:19], 0
	s_mov_b64 s[20:21], 0
.LBB4_326:                              ;   Parent Loop BB4_295 Depth=1
                                        ; =>  This Inner Loop Header: Depth=2
	s_add_u32 s24, s4, s20
	s_addc_u32 s25, s5, s21
	s_add_u32 s20, s20, 1
	global_load_ubyte v4, v6, s[24:25]
	s_addc_u32 s21, s21, 0
	s_waitcnt vmcnt(0)
	v_and_b32_e32 v5, 0xffff, v4
	v_lshlrev_b64 v[4:5], s18, v[5:6]
	s_add_u32 s18, s18, 8
	s_addc_u32 s19, s19, 0
	s_cmp_lg_u32 s23, s20
	v_or_b32_e32 v19, v4, v19
	v_or_b32_e32 v20, v5, v20
	s_cbranch_scc1 .LBB4_326
.LBB4_327:                              ;   in Loop: Header=BB4_295 Depth=1
	s_mov_b32 s22, 0
	s_cbranch_execz .LBB4_329
	s_branch .LBB4_330
.LBB4_328:                              ;   in Loop: Header=BB4_295 Depth=1
                                        ; implicit-def: $sgpr22
.LBB4_329:                              ;   in Loop: Header=BB4_295 Depth=1
	global_load_dwordx2 v[19:20], v6, s[4:5]
	s_add_i32 s22, s23, -8
	s_add_u32 s4, s4, 8
	s_addc_u32 s5, s5, 0
.LBB4_330:                              ;   in Loop: Header=BB4_295 Depth=1
	s_cmp_gt_u32 s22, 7
	s_cbranch_scc1 .LBB4_335
; %bb.331:                              ;   in Loop: Header=BB4_295 Depth=1
	v_mov_b32_e32 v21, 0
	v_mov_b32_e32 v22, 0
	s_cmp_eq_u32 s22, 0
	s_cbranch_scc1 .LBB4_334
; %bb.332:                              ;   in Loop: Header=BB4_295 Depth=1
	s_mov_b64 s[18:19], 0
	s_mov_b64 s[20:21], 0
.LBB4_333:                              ;   Parent Loop BB4_295 Depth=1
                                        ; =>  This Inner Loop Header: Depth=2
	s_add_u32 s24, s4, s20
	s_addc_u32 s25, s5, s21
	s_add_u32 s20, s20, 1
	global_load_ubyte v4, v6, s[24:25]
	s_addc_u32 s21, s21, 0
	s_waitcnt vmcnt(0)
	v_and_b32_e32 v5, 0xffff, v4
	v_lshlrev_b64 v[4:5], s18, v[5:6]
	s_add_u32 s18, s18, 8
	s_addc_u32 s19, s19, 0
	s_cmp_lg_u32 s22, s20
	v_or_b32_e32 v21, v4, v21
	v_or_b32_e32 v22, v5, v22
	s_cbranch_scc1 .LBB4_333
.LBB4_334:                              ;   in Loop: Header=BB4_295 Depth=1
	s_mov_b32 s23, 0
	s_cbranch_execz .LBB4_336
	s_branch .LBB4_337
.LBB4_335:                              ;   in Loop: Header=BB4_295 Depth=1
                                        ; implicit-def: $vgpr21_vgpr22
                                        ; implicit-def: $sgpr23
.LBB4_336:                              ;   in Loop: Header=BB4_295 Depth=1
	global_load_dwordx2 v[21:22], v6, s[4:5]
	s_add_i32 s23, s22, -8
	s_add_u32 s4, s4, 8
	s_addc_u32 s5, s5, 0
.LBB4_337:                              ;   in Loop: Header=BB4_295 Depth=1
	s_cmp_gt_u32 s23, 7
	s_cbranch_scc1 .LBB4_342
; %bb.338:                              ;   in Loop: Header=BB4_295 Depth=1
	v_mov_b32_e32 v23, 0
	v_mov_b32_e32 v24, 0
	s_cmp_eq_u32 s23, 0
	s_cbranch_scc1 .LBB4_341
; %bb.339:                              ;   in Loop: Header=BB4_295 Depth=1
	s_mov_b64 s[18:19], 0
	s_mov_b64 s[20:21], s[4:5]
.LBB4_340:                              ;   Parent Loop BB4_295 Depth=1
                                        ; =>  This Inner Loop Header: Depth=2
	global_load_ubyte v4, v6, s[20:21]
	s_add_i32 s23, s23, -1
	s_waitcnt vmcnt(0)
	v_and_b32_e32 v5, 0xffff, v4
	v_lshlrev_b64 v[4:5], s18, v[5:6]
	s_add_u32 s18, s18, 8
	s_addc_u32 s19, s19, 0
	s_add_u32 s20, s20, 1
	s_addc_u32 s21, s21, 0
	s_cmp_lg_u32 s23, 0
	v_or_b32_e32 v23, v4, v23
	v_or_b32_e32 v24, v5, v24
	s_cbranch_scc1 .LBB4_340
.LBB4_341:                              ;   in Loop: Header=BB4_295 Depth=1
	s_cbranch_execz .LBB4_343
	s_branch .LBB4_344
.LBB4_342:                              ;   in Loop: Header=BB4_295 Depth=1
.LBB4_343:                              ;   in Loop: Header=BB4_295 Depth=1
	global_load_dwordx2 v[23:24], v6, s[4:5]
.LBB4_344:                              ;   in Loop: Header=BB4_295 Depth=1
	v_readfirstlane_b32 s4, v50
	s_waitcnt vmcnt(0)
	v_mov_b32_e32 v4, 0
	v_mov_b32_e32 v5, 0
	v_cmp_eq_u32_e64 s4, s4, v50
	s_and_saveexec_b32 s5, s4
	s_cbranch_execz .LBB4_350
; %bb.345:                              ;   in Loop: Header=BB4_295 Depth=1
	global_load_dwordx2 v[27:28], v6, s[26:27] offset:24 glc dlc
	s_waitcnt vmcnt(0)
	buffer_gl1_inv
	buffer_gl0_inv
	s_clause 0x1
	global_load_dwordx2 v[4:5], v6, s[26:27] offset:40
	global_load_dwordx2 v[9:10], v6, s[26:27]
	s_mov_b32 s18, exec_lo
	s_waitcnt vmcnt(1)
	v_and_b32_e32 v5, v5, v28
	v_and_b32_e32 v4, v4, v27
	v_mul_lo_u32 v5, v5, 24
	v_mul_hi_u32 v25, v4, 24
	v_mul_lo_u32 v4, v4, 24
	v_add_nc_u32_e32 v5, v25, v5
	s_waitcnt vmcnt(0)
	v_add_co_u32 v4, vcc_lo, v9, v4
	v_add_co_ci_u32_e32 v5, vcc_lo, v10, v5, vcc_lo
	global_load_dwordx2 v[25:26], v[4:5], off glc dlc
	s_waitcnt vmcnt(0)
	global_atomic_cmpswap_x2 v[4:5], v6, v[25:28], s[26:27] offset:24 glc
	s_waitcnt vmcnt(0)
	buffer_gl1_inv
	buffer_gl0_inv
	v_cmpx_ne_u64_e64 v[4:5], v[27:28]
	s_cbranch_execz .LBB4_349
; %bb.346:                              ;   in Loop: Header=BB4_295 Depth=1
	s_mov_b32 s19, 0
	.p2align	6
.LBB4_347:                              ;   Parent Loop BB4_295 Depth=1
                                        ; =>  This Inner Loop Header: Depth=2
	s_sleep 1
	s_clause 0x1
	global_load_dwordx2 v[9:10], v6, s[26:27] offset:40
	global_load_dwordx2 v[25:26], v6, s[26:27]
	v_mov_b32_e32 v28, v5
	v_mov_b32_e32 v27, v4
	s_waitcnt vmcnt(1)
	v_and_b32_e32 v4, v9, v27
	v_and_b32_e32 v9, v10, v28
	s_waitcnt vmcnt(0)
	v_mad_u64_u32 v[4:5], null, v4, 24, v[25:26]
	v_mad_u64_u32 v[9:10], null, v9, 24, v[5:6]
	v_mov_b32_e32 v5, v9
	global_load_dwordx2 v[25:26], v[4:5], off glc dlc
	s_waitcnt vmcnt(0)
	global_atomic_cmpswap_x2 v[4:5], v6, v[25:28], s[26:27] offset:24 glc
	s_waitcnt vmcnt(0)
	buffer_gl1_inv
	buffer_gl0_inv
	v_cmp_eq_u64_e32 vcc_lo, v[4:5], v[27:28]
	s_or_b32 s19, vcc_lo, s19
	s_andn2_b32 exec_lo, exec_lo, s19
	s_cbranch_execnz .LBB4_347
; %bb.348:                              ;   in Loop: Header=BB4_295 Depth=1
	s_or_b32 exec_lo, exec_lo, s19
.LBB4_349:                              ;   in Loop: Header=BB4_295 Depth=1
	s_or_b32 exec_lo, exec_lo, s18
.LBB4_350:                              ;   in Loop: Header=BB4_295 Depth=1
	s_or_b32 exec_lo, exec_lo, s5
	s_clause 0x1
	global_load_dwordx2 v[9:10], v6, s[26:27] offset:40
	global_load_dwordx4 v[25:28], v6, s[26:27]
	v_readfirstlane_b32 s18, v4
	v_readfirstlane_b32 s19, v5
	s_mov_b32 s5, exec_lo
	s_waitcnt vmcnt(1)
	v_readfirstlane_b32 s20, v9
	v_readfirstlane_b32 s21, v10
	s_and_b64 s[20:21], s[18:19], s[20:21]
	s_mul_i32 s22, s21, 24
	s_mul_hi_u32 s23, s20, 24
	s_mul_i32 s24, s20, 24
	s_add_i32 s23, s23, s22
	s_waitcnt vmcnt(0)
	v_add_co_u32 v29, vcc_lo, v25, s24
	v_add_co_ci_u32_e32 v30, vcc_lo, s23, v26, vcc_lo
	s_and_saveexec_b32 s22, s4
	s_cbranch_execz .LBB4_352
; %bb.351:                              ;   in Loop: Header=BB4_295 Depth=1
	v_mov_b32_e32 v5, s5
	global_store_dwordx4 v[29:30], v[5:8], off offset:8
.LBB4_352:                              ;   in Loop: Header=BB4_295 Depth=1
	s_or_b32 exec_lo, exec_lo, s22
	s_lshl_b64 s[20:21], s[20:21], 12
	v_cmp_gt_u64_e64 vcc_lo, s[10:11], 56
	v_or_b32_e32 v5, v2, v31
	v_add_co_u32 v27, s5, v27, s20
	v_add_co_ci_u32_e64 v28, s5, s21, v28, s5
	s_lshl_b32 s5, s16, 2
	v_or_b32_e32 v4, 0, v3
	v_cndmask_b32_e32 v2, v5, v2, vcc_lo
	s_add_i32 s5, s5, 28
	v_readfirstlane_b32 s20, v27
	s_and_b32 s5, s5, 0x1e0
	v_cndmask_b32_e32 v10, v4, v3, vcc_lo
	v_readfirstlane_b32 s21, v28
	v_and_or_b32 v9, 0xffffff1f, v2, s5
	global_store_dwordx4 v39, v[9:12], s[20:21]
	global_store_dwordx4 v39, v[13:16], s[20:21] offset:16
	global_store_dwordx4 v39, v[17:20], s[20:21] offset:32
	global_store_dwordx4 v39, v[21:24], s[20:21] offset:48
	s_and_saveexec_b32 s5, s4
	s_cbranch_execz .LBB4_360
; %bb.353:                              ;   in Loop: Header=BB4_295 Depth=1
	s_clause 0x1
	global_load_dwordx2 v[13:14], v6, s[26:27] offset:32 glc dlc
	global_load_dwordx2 v[2:3], v6, s[26:27] offset:40
	v_mov_b32_e32 v11, s18
	v_mov_b32_e32 v12, s19
	s_waitcnt vmcnt(0)
	v_readfirstlane_b32 s20, v2
	v_readfirstlane_b32 s21, v3
	s_and_b64 s[20:21], s[20:21], s[18:19]
	s_mul_i32 s21, s21, 24
	s_mul_hi_u32 s22, s20, 24
	s_mul_i32 s20, s20, 24
	s_add_i32 s22, s22, s21
	v_add_co_u32 v9, vcc_lo, v25, s20
	v_add_co_ci_u32_e32 v10, vcc_lo, s22, v26, vcc_lo
	s_mov_b32 s20, exec_lo
	global_store_dwordx2 v[9:10], v[13:14], off
	s_waitcnt_vscnt null, 0x0
	global_atomic_cmpswap_x2 v[4:5], v6, v[11:14], s[26:27] offset:32 glc
	s_waitcnt vmcnt(0)
	v_cmpx_ne_u64_e64 v[4:5], v[13:14]
	s_cbranch_execz .LBB4_356
; %bb.354:                              ;   in Loop: Header=BB4_295 Depth=1
	s_mov_b32 s21, 0
.LBB4_355:                              ;   Parent Loop BB4_295 Depth=1
                                        ; =>  This Inner Loop Header: Depth=2
	v_mov_b32_e32 v2, s18
	v_mov_b32_e32 v3, s19
	s_sleep 1
	global_store_dwordx2 v[9:10], v[4:5], off
	s_waitcnt_vscnt null, 0x0
	global_atomic_cmpswap_x2 v[2:3], v6, v[2:5], s[26:27] offset:32 glc
	s_waitcnt vmcnt(0)
	v_cmp_eq_u64_e32 vcc_lo, v[2:3], v[4:5]
	v_mov_b32_e32 v5, v3
	v_mov_b32_e32 v4, v2
	s_or_b32 s21, vcc_lo, s21
	s_andn2_b32 exec_lo, exec_lo, s21
	s_cbranch_execnz .LBB4_355
.LBB4_356:                              ;   in Loop: Header=BB4_295 Depth=1
	s_or_b32 exec_lo, exec_lo, s20
	global_load_dwordx2 v[2:3], v6, s[26:27] offset:16
	s_mov_b32 s21, exec_lo
	s_mov_b32 s20, exec_lo
	v_mbcnt_lo_u32_b32 v4, s21, 0
	v_cmpx_eq_u32_e32 0, v4
	s_cbranch_execz .LBB4_358
; %bb.357:                              ;   in Loop: Header=BB4_295 Depth=1
	s_bcnt1_i32_b32 s21, s21
	v_mov_b32_e32 v5, s21
	s_waitcnt vmcnt(0)
	global_atomic_add_x2 v[2:3], v[5:6], off offset:8
.LBB4_358:                              ;   in Loop: Header=BB4_295 Depth=1
	s_or_b32 exec_lo, exec_lo, s20
	s_waitcnt vmcnt(0)
	global_load_dwordx2 v[9:10], v[2:3], off offset:16
	s_waitcnt vmcnt(0)
	v_cmp_eq_u64_e32 vcc_lo, 0, v[9:10]
	s_cbranch_vccnz .LBB4_360
; %bb.359:                              ;   in Loop: Header=BB4_295 Depth=1
	global_load_dword v5, v[2:3], off offset:24
	s_waitcnt vmcnt(0)
	v_and_b32_e32 v2, 0x7fffff, v5
	s_waitcnt_vscnt null, 0x0
	global_store_dwordx2 v[9:10], v[5:6], off
	v_readfirstlane_b32 m0, v2
	s_sendmsg sendmsg(MSG_INTERRUPT)
.LBB4_360:                              ;   in Loop: Header=BB4_295 Depth=1
	s_or_b32 exec_lo, exec_lo, s5
	v_add_co_u32 v2, vcc_lo, v27, v39
	v_add_co_ci_u32_e32 v3, vcc_lo, 0, v28, vcc_lo
	s_branch .LBB4_364
	.p2align	6
.LBB4_361:                              ;   in Loop: Header=BB4_364 Depth=2
	s_or_b32 exec_lo, exec_lo, s5
	v_readfirstlane_b32 s5, v4
	s_cmp_eq_u32 s5, 0
	s_cbranch_scc1 .LBB4_363
; %bb.362:                              ;   in Loop: Header=BB4_364 Depth=2
	s_sleep 1
	s_cbranch_execnz .LBB4_364
	s_branch .LBB4_366
	.p2align	6
.LBB4_363:                              ;   in Loop: Header=BB4_295 Depth=1
	s_branch .LBB4_366
.LBB4_364:                              ;   Parent Loop BB4_295 Depth=1
                                        ; =>  This Inner Loop Header: Depth=2
	v_mov_b32_e32 v4, 1
	s_and_saveexec_b32 s5, s4
	s_cbranch_execz .LBB4_361
; %bb.365:                              ;   in Loop: Header=BB4_364 Depth=2
	global_load_dword v4, v[29:30], off offset:20 glc dlc
	s_waitcnt vmcnt(0)
	buffer_gl1_inv
	buffer_gl0_inv
	v_and_b32_e32 v4, 1, v4
	s_branch .LBB4_361
.LBB4_366:                              ;   in Loop: Header=BB4_295 Depth=1
	global_load_dwordx4 v[2:5], v[2:3], off
	s_and_saveexec_b32 s5, s4
	s_cbranch_execz .LBB4_294
; %bb.367:                              ;   in Loop: Header=BB4_295 Depth=1
	s_clause 0x2
	global_load_dwordx2 v[4:5], v6, s[26:27] offset:40
	global_load_dwordx2 v[13:14], v6, s[26:27] offset:24 glc dlc
	global_load_dwordx2 v[11:12], v6, s[26:27]
	s_waitcnt vmcnt(2)
	v_add_co_u32 v15, vcc_lo, v4, 1
	v_add_co_ci_u32_e32 v16, vcc_lo, 0, v5, vcc_lo
	v_add_co_u32 v9, vcc_lo, v15, s18
	v_add_co_ci_u32_e32 v10, vcc_lo, s19, v16, vcc_lo
	v_cmp_eq_u64_e32 vcc_lo, 0, v[9:10]
	v_cndmask_b32_e32 v10, v10, v16, vcc_lo
	v_cndmask_b32_e32 v9, v9, v15, vcc_lo
	v_and_b32_e32 v5, v10, v5
	v_and_b32_e32 v4, v9, v4
	v_mul_lo_u32 v5, v5, 24
	v_mul_hi_u32 v15, v4, 24
	v_mul_lo_u32 v4, v4, 24
	v_add_nc_u32_e32 v5, v15, v5
	s_waitcnt vmcnt(0)
	v_add_co_u32 v4, vcc_lo, v11, v4
	v_mov_b32_e32 v11, v13
	v_add_co_ci_u32_e32 v5, vcc_lo, v12, v5, vcc_lo
	v_mov_b32_e32 v12, v14
	global_store_dwordx2 v[4:5], v[13:14], off
	s_waitcnt_vscnt null, 0x0
	global_atomic_cmpswap_x2 v[11:12], v6, v[9:12], s[26:27] offset:24 glc
	s_waitcnt vmcnt(0)
	v_cmp_ne_u64_e32 vcc_lo, v[11:12], v[13:14]
	s_and_b32 exec_lo, exec_lo, vcc_lo
	s_cbranch_execz .LBB4_294
; %bb.368:                              ;   in Loop: Header=BB4_295 Depth=1
	s_mov_b32 s4, 0
.LBB4_369:                              ;   Parent Loop BB4_295 Depth=1
                                        ; =>  This Inner Loop Header: Depth=2
	s_sleep 1
	global_store_dwordx2 v[4:5], v[11:12], off
	s_waitcnt_vscnt null, 0x0
	global_atomic_cmpswap_x2 v[13:14], v6, v[9:12], s[26:27] offset:24 glc
	s_waitcnt vmcnt(0)
	v_cmp_eq_u64_e32 vcc_lo, v[13:14], v[11:12]
	v_mov_b32_e32 v11, v13
	v_mov_b32_e32 v12, v14
	s_or_b32 s4, vcc_lo, s4
	s_andn2_b32 exec_lo, exec_lo, s4
	s_cbranch_execnz .LBB4_369
	s_branch .LBB4_294
.LBB4_370:
	s_branch .LBB4_399
.LBB4_371:
                                        ; implicit-def: $vgpr2_vgpr3
	s_cbranch_execz .LBB4_399
; %bb.372:
	v_readfirstlane_b32 s4, v50
	v_mov_b32_e32 v8, 0
	v_mov_b32_e32 v9, 0
	v_cmp_eq_u32_e64 s4, s4, v50
	s_and_saveexec_b32 s5, s4
	s_cbranch_execz .LBB4_378
; %bb.373:
	s_waitcnt vmcnt(0)
	v_mov_b32_e32 v2, 0
	s_mov_b32 s6, exec_lo
	global_load_dwordx2 v[5:6], v2, s[26:27] offset:24 glc dlc
	s_waitcnt vmcnt(0)
	buffer_gl1_inv
	buffer_gl0_inv
	s_clause 0x1
	global_load_dwordx2 v[3:4], v2, s[26:27] offset:40
	global_load_dwordx2 v[7:8], v2, s[26:27]
	s_waitcnt vmcnt(1)
	v_and_b32_e32 v4, v4, v6
	v_and_b32_e32 v3, v3, v5
	v_mul_lo_u32 v4, v4, 24
	v_mul_hi_u32 v9, v3, 24
	v_mul_lo_u32 v3, v3, 24
	v_add_nc_u32_e32 v4, v9, v4
	s_waitcnt vmcnt(0)
	v_add_co_u32 v3, vcc_lo, v7, v3
	v_add_co_ci_u32_e32 v4, vcc_lo, v8, v4, vcc_lo
	global_load_dwordx2 v[3:4], v[3:4], off glc dlc
	s_waitcnt vmcnt(0)
	global_atomic_cmpswap_x2 v[8:9], v2, v[3:6], s[26:27] offset:24 glc
	s_waitcnt vmcnt(0)
	buffer_gl1_inv
	buffer_gl0_inv
	v_cmpx_ne_u64_e64 v[8:9], v[5:6]
	s_cbranch_execz .LBB4_377
; %bb.374:
	s_mov_b32 s7, 0
	.p2align	6
.LBB4_375:                              ; =>This Inner Loop Header: Depth=1
	s_sleep 1
	s_clause 0x1
	global_load_dwordx2 v[3:4], v2, s[26:27] offset:40
	global_load_dwordx2 v[10:11], v2, s[26:27]
	v_mov_b32_e32 v5, v8
	v_mov_b32_e32 v6, v9
	s_waitcnt vmcnt(1)
	v_and_b32_e32 v3, v3, v5
	v_and_b32_e32 v4, v4, v6
	s_waitcnt vmcnt(0)
	v_mad_u64_u32 v[7:8], null, v3, 24, v[10:11]
	v_mov_b32_e32 v3, v8
	v_mad_u64_u32 v[3:4], null, v4, 24, v[3:4]
	v_mov_b32_e32 v8, v3
	global_load_dwordx2 v[3:4], v[7:8], off glc dlc
	s_waitcnt vmcnt(0)
	global_atomic_cmpswap_x2 v[8:9], v2, v[3:6], s[26:27] offset:24 glc
	s_waitcnt vmcnt(0)
	buffer_gl1_inv
	buffer_gl0_inv
	v_cmp_eq_u64_e32 vcc_lo, v[8:9], v[5:6]
	s_or_b32 s7, vcc_lo, s7
	s_andn2_b32 exec_lo, exec_lo, s7
	s_cbranch_execnz .LBB4_375
; %bb.376:
	s_or_b32 exec_lo, exec_lo, s7
.LBB4_377:
	s_or_b32 exec_lo, exec_lo, s6
.LBB4_378:
	s_or_b32 exec_lo, exec_lo, s5
	s_waitcnt vmcnt(0)
	v_mov_b32_e32 v2, 0
	v_readfirstlane_b32 s6, v8
	v_readfirstlane_b32 s7, v9
	s_mov_b32 s5, exec_lo
	s_clause 0x1
	global_load_dwordx2 v[10:11], v2, s[26:27] offset:40
	global_load_dwordx4 v[4:7], v2, s[26:27]
	s_waitcnt vmcnt(1)
	v_readfirstlane_b32 s10, v10
	v_readfirstlane_b32 s11, v11
	s_and_b64 s[10:11], s[6:7], s[10:11]
	s_mul_i32 s16, s11, 24
	s_mul_hi_u32 s17, s10, 24
	s_mul_i32 s18, s10, 24
	s_add_i32 s17, s17, s16
	s_waitcnt vmcnt(0)
	v_add_co_u32 v8, vcc_lo, v4, s18
	v_add_co_ci_u32_e32 v9, vcc_lo, s17, v5, vcc_lo
	s_and_saveexec_b32 s16, s4
	s_cbranch_execz .LBB4_380
; %bb.379:
	v_mov_b32_e32 v10, s5
	v_mov_b32_e32 v11, v2
	;; [unrolled: 1-line block ×4, first 2 shown]
	global_store_dwordx4 v[8:9], v[10:13], off offset:8
.LBB4_380:
	s_or_b32 exec_lo, exec_lo, s16
	s_lshl_b64 s[10:11], s[10:11], 12
	s_mov_b32 s16, 0
	v_add_co_u32 v6, vcc_lo, v6, s10
	v_add_co_ci_u32_e32 v7, vcc_lo, s11, v7, vcc_lo
	s_mov_b32 s17, s16
	v_readfirstlane_b32 s10, v6
	v_add_co_u32 v6, vcc_lo, v6, v39
	s_mov_b32 s18, s16
	s_mov_b32 s19, s16
	v_and_or_b32 v0, 0xffffff1f, v0, 32
	v_mov_b32_e32 v3, v2
	v_readfirstlane_b32 s11, v7
	v_mov_b32_e32 v10, s16
	v_add_co_ci_u32_e32 v7, vcc_lo, 0, v7, vcc_lo
	v_mov_b32_e32 v11, s17
	v_mov_b32_e32 v12, s18
	;; [unrolled: 1-line block ×3, first 2 shown]
	global_store_dwordx4 v39, v[0:3], s[10:11]
	global_store_dwordx4 v39, v[10:13], s[10:11] offset:16
	global_store_dwordx4 v39, v[10:13], s[10:11] offset:32
	;; [unrolled: 1-line block ×3, first 2 shown]
	s_and_saveexec_b32 s5, s4
	s_cbranch_execz .LBB4_388
; %bb.381:
	v_mov_b32_e32 v10, 0
	v_mov_b32_e32 v11, s6
	;; [unrolled: 1-line block ×3, first 2 shown]
	s_clause 0x1
	global_load_dwordx2 v[13:14], v10, s[26:27] offset:32 glc dlc
	global_load_dwordx2 v[0:1], v10, s[26:27] offset:40
	s_waitcnt vmcnt(0)
	v_readfirstlane_b32 s10, v0
	v_readfirstlane_b32 s11, v1
	s_and_b64 s[10:11], s[10:11], s[6:7]
	s_mul_i32 s11, s11, 24
	s_mul_hi_u32 s16, s10, 24
	s_mul_i32 s10, s10, 24
	s_add_i32 s16, s16, s11
	v_add_co_u32 v4, vcc_lo, v4, s10
	v_add_co_ci_u32_e32 v5, vcc_lo, s16, v5, vcc_lo
	s_mov_b32 s10, exec_lo
	global_store_dwordx2 v[4:5], v[13:14], off
	s_waitcnt_vscnt null, 0x0
	global_atomic_cmpswap_x2 v[2:3], v10, v[11:14], s[26:27] offset:32 glc
	s_waitcnt vmcnt(0)
	v_cmpx_ne_u64_e64 v[2:3], v[13:14]
	s_cbranch_execz .LBB4_384
; %bb.382:
	s_mov_b32 s11, 0
.LBB4_383:                              ; =>This Inner Loop Header: Depth=1
	v_mov_b32_e32 v0, s6
	v_mov_b32_e32 v1, s7
	s_sleep 1
	global_store_dwordx2 v[4:5], v[2:3], off
	s_waitcnt_vscnt null, 0x0
	global_atomic_cmpswap_x2 v[0:1], v10, v[0:3], s[26:27] offset:32 glc
	s_waitcnt vmcnt(0)
	v_cmp_eq_u64_e32 vcc_lo, v[0:1], v[2:3]
	v_mov_b32_e32 v3, v1
	v_mov_b32_e32 v2, v0
	s_or_b32 s11, vcc_lo, s11
	s_andn2_b32 exec_lo, exec_lo, s11
	s_cbranch_execnz .LBB4_383
.LBB4_384:
	s_or_b32 exec_lo, exec_lo, s10
	v_mov_b32_e32 v3, 0
	s_mov_b32 s11, exec_lo
	s_mov_b32 s10, exec_lo
	v_mbcnt_lo_u32_b32 v2, s11, 0
	global_load_dwordx2 v[0:1], v3, s[26:27] offset:16
	v_cmpx_eq_u32_e32 0, v2
	s_cbranch_execz .LBB4_386
; %bb.385:
	s_bcnt1_i32_b32 s11, s11
	v_mov_b32_e32 v2, s11
	s_waitcnt vmcnt(0)
	global_atomic_add_x2 v[0:1], v[2:3], off offset:8
.LBB4_386:
	s_or_b32 exec_lo, exec_lo, s10
	s_waitcnt vmcnt(0)
	global_load_dwordx2 v[2:3], v[0:1], off offset:16
	s_waitcnt vmcnt(0)
	v_cmp_eq_u64_e32 vcc_lo, 0, v[2:3]
	s_cbranch_vccnz .LBB4_388
; %bb.387:
	global_load_dword v0, v[0:1], off offset:24
	v_mov_b32_e32 v1, 0
	s_waitcnt vmcnt(0)
	v_and_b32_e32 v4, 0x7fffff, v0
	s_waitcnt_vscnt null, 0x0
	global_store_dwordx2 v[2:3], v[0:1], off
	v_readfirstlane_b32 m0, v4
	s_sendmsg sendmsg(MSG_INTERRUPT)
.LBB4_388:
	s_or_b32 exec_lo, exec_lo, s5
	s_branch .LBB4_392
	.p2align	6
.LBB4_389:                              ;   in Loop: Header=BB4_392 Depth=1
	s_or_b32 exec_lo, exec_lo, s5
	v_readfirstlane_b32 s5, v0
	s_cmp_eq_u32 s5, 0
	s_cbranch_scc1 .LBB4_391
; %bb.390:                              ;   in Loop: Header=BB4_392 Depth=1
	s_sleep 1
	s_cbranch_execnz .LBB4_392
	s_branch .LBB4_394
	.p2align	6
.LBB4_391:
	s_branch .LBB4_394
.LBB4_392:                              ; =>This Inner Loop Header: Depth=1
	v_mov_b32_e32 v0, 1
	s_and_saveexec_b32 s5, s4
	s_cbranch_execz .LBB4_389
; %bb.393:                              ;   in Loop: Header=BB4_392 Depth=1
	global_load_dword v0, v[8:9], off offset:20 glc dlc
	s_waitcnt vmcnt(0)
	buffer_gl1_inv
	buffer_gl0_inv
	v_and_b32_e32 v0, 1, v0
	s_branch .LBB4_389
.LBB4_394:
	global_load_dwordx2 v[2:3], v[6:7], off
	s_and_saveexec_b32 s5, s4
	s_cbranch_execz .LBB4_398
; %bb.395:
	v_mov_b32_e32 v8, 0
	s_clause 0x2
	global_load_dwordx2 v[0:1], v8, s[26:27] offset:40
	global_load_dwordx2 v[9:10], v8, s[26:27] offset:24 glc dlc
	global_load_dwordx2 v[6:7], v8, s[26:27]
	s_waitcnt vmcnt(2)
	v_add_co_u32 v11, vcc_lo, v0, 1
	v_add_co_ci_u32_e32 v12, vcc_lo, 0, v1, vcc_lo
	v_add_co_u32 v4, vcc_lo, v11, s6
	v_add_co_ci_u32_e32 v5, vcc_lo, s7, v12, vcc_lo
	v_cmp_eq_u64_e32 vcc_lo, 0, v[4:5]
	v_cndmask_b32_e32 v5, v5, v12, vcc_lo
	v_cndmask_b32_e32 v4, v4, v11, vcc_lo
	v_and_b32_e32 v1, v5, v1
	v_and_b32_e32 v0, v4, v0
	v_mul_lo_u32 v1, v1, 24
	v_mul_hi_u32 v11, v0, 24
	v_mul_lo_u32 v0, v0, 24
	v_add_nc_u32_e32 v1, v11, v1
	s_waitcnt vmcnt(0)
	v_add_co_u32 v0, vcc_lo, v6, v0
	v_mov_b32_e32 v6, v9
	v_add_co_ci_u32_e32 v1, vcc_lo, v7, v1, vcc_lo
	v_mov_b32_e32 v7, v10
	global_store_dwordx2 v[0:1], v[9:10], off
	s_waitcnt_vscnt null, 0x0
	global_atomic_cmpswap_x2 v[6:7], v8, v[4:7], s[26:27] offset:24 glc
	s_waitcnt vmcnt(0)
	v_cmp_ne_u64_e32 vcc_lo, v[6:7], v[9:10]
	s_and_b32 exec_lo, exec_lo, vcc_lo
	s_cbranch_execz .LBB4_398
; %bb.396:
	s_mov_b32 s4, 0
.LBB4_397:                              ; =>This Inner Loop Header: Depth=1
	s_sleep 1
	global_store_dwordx2 v[0:1], v[6:7], off
	s_waitcnt_vscnt null, 0x0
	global_atomic_cmpswap_x2 v[9:10], v8, v[4:7], s[26:27] offset:24 glc
	s_waitcnt vmcnt(0)
	v_cmp_eq_u64_e32 vcc_lo, v[9:10], v[6:7]
	v_mov_b32_e32 v6, v9
	v_mov_b32_e32 v7, v10
	s_or_b32 s4, vcc_lo, s4
	s_andn2_b32 exec_lo, exec_lo, s4
	s_cbranch_execnz .LBB4_397
.LBB4_398:
	s_or_b32 exec_lo, exec_lo, s5
.LBB4_399:
	v_readfirstlane_b32 s4, v50
	s_waitcnt vmcnt(0)
	v_mov_b32_e32 v0, 0
	v_mov_b32_e32 v1, 0
	v_cmp_eq_u32_e64 s4, s4, v50
	s_and_saveexec_b32 s5, s4
	s_cbranch_execz .LBB4_405
; %bb.400:
	v_mov_b32_e32 v4, 0
	s_mov_b32 s6, exec_lo
	global_load_dwordx2 v[7:8], v4, s[26:27] offset:24 glc dlc
	s_waitcnt vmcnt(0)
	buffer_gl1_inv
	buffer_gl0_inv
	s_clause 0x1
	global_load_dwordx2 v[0:1], v4, s[26:27] offset:40
	global_load_dwordx2 v[5:6], v4, s[26:27]
	s_waitcnt vmcnt(1)
	v_and_b32_e32 v1, v1, v8
	v_and_b32_e32 v0, v0, v7
	v_mul_lo_u32 v1, v1, 24
	v_mul_hi_u32 v9, v0, 24
	v_mul_lo_u32 v0, v0, 24
	v_add_nc_u32_e32 v1, v9, v1
	s_waitcnt vmcnt(0)
	v_add_co_u32 v0, vcc_lo, v5, v0
	v_add_co_ci_u32_e32 v1, vcc_lo, v6, v1, vcc_lo
	global_load_dwordx2 v[5:6], v[0:1], off glc dlc
	s_waitcnt vmcnt(0)
	global_atomic_cmpswap_x2 v[0:1], v4, v[5:8], s[26:27] offset:24 glc
	s_waitcnt vmcnt(0)
	buffer_gl1_inv
	buffer_gl0_inv
	v_cmpx_ne_u64_e64 v[0:1], v[7:8]
	s_cbranch_execz .LBB4_404
; %bb.401:
	s_mov_b32 s7, 0
	.p2align	6
.LBB4_402:                              ; =>This Inner Loop Header: Depth=1
	s_sleep 1
	s_clause 0x1
	global_load_dwordx2 v[5:6], v4, s[26:27] offset:40
	global_load_dwordx2 v[9:10], v4, s[26:27]
	v_mov_b32_e32 v8, v1
	v_mov_b32_e32 v7, v0
	s_waitcnt vmcnt(1)
	v_and_b32_e32 v0, v5, v7
	v_and_b32_e32 v5, v6, v8
	s_waitcnt vmcnt(0)
	v_mad_u64_u32 v[0:1], null, v0, 24, v[9:10]
	v_mad_u64_u32 v[5:6], null, v5, 24, v[1:2]
	v_mov_b32_e32 v1, v5
	global_load_dwordx2 v[5:6], v[0:1], off glc dlc
	s_waitcnt vmcnt(0)
	global_atomic_cmpswap_x2 v[0:1], v4, v[5:8], s[26:27] offset:24 glc
	s_waitcnt vmcnt(0)
	buffer_gl1_inv
	buffer_gl0_inv
	v_cmp_eq_u64_e32 vcc_lo, v[0:1], v[7:8]
	s_or_b32 s7, vcc_lo, s7
	s_andn2_b32 exec_lo, exec_lo, s7
	s_cbranch_execnz .LBB4_402
; %bb.403:
	s_or_b32 exec_lo, exec_lo, s7
.LBB4_404:
	s_or_b32 exec_lo, exec_lo, s6
.LBB4_405:
	s_or_b32 exec_lo, exec_lo, s5
	v_mov_b32_e32 v5, 0
	v_readfirstlane_b32 s6, v0
	v_readfirstlane_b32 s7, v1
	s_mov_b32 s5, exec_lo
	s_clause 0x1
	global_load_dwordx2 v[10:11], v5, s[26:27] offset:40
	global_load_dwordx4 v[6:9], v5, s[26:27]
	s_waitcnt vmcnt(1)
	v_readfirstlane_b32 s10, v10
	v_readfirstlane_b32 s11, v11
	s_and_b64 s[10:11], s[6:7], s[10:11]
	s_mul_i32 s16, s11, 24
	s_mul_hi_u32 s17, s10, 24
	s_mul_i32 s18, s10, 24
	s_add_i32 s17, s17, s16
	s_waitcnt vmcnt(0)
	v_add_co_u32 v10, vcc_lo, v6, s18
	v_add_co_ci_u32_e32 v11, vcc_lo, s17, v7, vcc_lo
	s_and_saveexec_b32 s16, s4
	s_cbranch_execz .LBB4_407
; %bb.406:
	v_mov_b32_e32 v4, s5
	v_mov_b32_e32 v13, v5
	;; [unrolled: 1-line block ×5, first 2 shown]
	global_store_dwordx4 v[10:11], v[12:15], off offset:8
.LBB4_407:
	s_or_b32 exec_lo, exec_lo, s16
	s_lshl_b64 s[10:11], s[10:11], 12
	s_mov_b32 s16, 0
	v_add_co_u32 v0, vcc_lo, v8, s10
	v_add_co_ci_u32_e32 v1, vcc_lo, s11, v9, vcc_lo
	s_mov_b32 s17, s16
	s_mov_b32 s18, s16
	;; [unrolled: 1-line block ×3, first 2 shown]
	v_and_or_b32 v2, 0xffffff1d, v2, 34
	v_mov_b32_e32 v4, 10
	v_readfirstlane_b32 s10, v0
	v_readfirstlane_b32 s11, v1
	v_mov_b32_e32 v12, s16
	v_mov_b32_e32 v13, s17
	v_mov_b32_e32 v14, s18
	v_mov_b32_e32 v15, s19
	global_store_dwordx4 v39, v[2:5], s[10:11]
	global_store_dwordx4 v39, v[12:15], s[10:11] offset:16
	global_store_dwordx4 v39, v[12:15], s[10:11] offset:32
	;; [unrolled: 1-line block ×3, first 2 shown]
	s_and_saveexec_b32 s5, s4
	s_cbranch_execz .LBB4_415
; %bb.408:
	v_mov_b32_e32 v8, 0
	v_mov_b32_e32 v12, s6
	;; [unrolled: 1-line block ×3, first 2 shown]
	s_clause 0x1
	global_load_dwordx2 v[14:15], v8, s[26:27] offset:32 glc dlc
	global_load_dwordx2 v[0:1], v8, s[26:27] offset:40
	s_waitcnt vmcnt(0)
	v_readfirstlane_b32 s10, v0
	v_readfirstlane_b32 s11, v1
	s_and_b64 s[10:11], s[10:11], s[6:7]
	s_mul_i32 s11, s11, 24
	s_mul_hi_u32 s16, s10, 24
	s_mul_i32 s10, s10, 24
	s_add_i32 s16, s16, s11
	v_add_co_u32 v4, vcc_lo, v6, s10
	v_add_co_ci_u32_e32 v5, vcc_lo, s16, v7, vcc_lo
	s_mov_b32 s10, exec_lo
	global_store_dwordx2 v[4:5], v[14:15], off
	s_waitcnt_vscnt null, 0x0
	global_atomic_cmpswap_x2 v[2:3], v8, v[12:15], s[26:27] offset:32 glc
	s_waitcnt vmcnt(0)
	v_cmpx_ne_u64_e64 v[2:3], v[14:15]
	s_cbranch_execz .LBB4_411
; %bb.409:
	s_mov_b32 s11, 0
.LBB4_410:                              ; =>This Inner Loop Header: Depth=1
	v_mov_b32_e32 v0, s6
	v_mov_b32_e32 v1, s7
	s_sleep 1
	global_store_dwordx2 v[4:5], v[2:3], off
	s_waitcnt_vscnt null, 0x0
	global_atomic_cmpswap_x2 v[0:1], v8, v[0:3], s[26:27] offset:32 glc
	s_waitcnt vmcnt(0)
	v_cmp_eq_u64_e32 vcc_lo, v[0:1], v[2:3]
	v_mov_b32_e32 v3, v1
	v_mov_b32_e32 v2, v0
	s_or_b32 s11, vcc_lo, s11
	s_andn2_b32 exec_lo, exec_lo, s11
	s_cbranch_execnz .LBB4_410
.LBB4_411:
	s_or_b32 exec_lo, exec_lo, s10
	v_mov_b32_e32 v3, 0
	s_mov_b32 s11, exec_lo
	s_mov_b32 s10, exec_lo
	v_mbcnt_lo_u32_b32 v2, s11, 0
	global_load_dwordx2 v[0:1], v3, s[26:27] offset:16
	v_cmpx_eq_u32_e32 0, v2
	s_cbranch_execz .LBB4_413
; %bb.412:
	s_bcnt1_i32_b32 s11, s11
	v_mov_b32_e32 v2, s11
	s_waitcnt vmcnt(0)
	global_atomic_add_x2 v[0:1], v[2:3], off offset:8
.LBB4_413:
	s_or_b32 exec_lo, exec_lo, s10
	s_waitcnt vmcnt(0)
	global_load_dwordx2 v[2:3], v[0:1], off offset:16
	s_waitcnt vmcnt(0)
	v_cmp_eq_u64_e32 vcc_lo, 0, v[2:3]
	s_cbranch_vccnz .LBB4_415
; %bb.414:
	global_load_dword v0, v[0:1], off offset:24
	v_mov_b32_e32 v1, 0
	s_waitcnt vmcnt(0)
	v_and_b32_e32 v4, 0x7fffff, v0
	s_waitcnt_vscnt null, 0x0
	global_store_dwordx2 v[2:3], v[0:1], off
	v_readfirstlane_b32 m0, v4
	s_sendmsg sendmsg(MSG_INTERRUPT)
.LBB4_415:
	s_or_b32 exec_lo, exec_lo, s5
	s_branch .LBB4_419
	.p2align	6
.LBB4_416:                              ;   in Loop: Header=BB4_419 Depth=1
	s_or_b32 exec_lo, exec_lo, s5
	v_readfirstlane_b32 s5, v0
	s_cmp_eq_u32 s5, 0
	s_cbranch_scc1 .LBB4_418
; %bb.417:                              ;   in Loop: Header=BB4_419 Depth=1
	s_sleep 1
	s_cbranch_execnz .LBB4_419
	s_branch .LBB4_421
	.p2align	6
.LBB4_418:
	s_branch .LBB4_421
.LBB4_419:                              ; =>This Inner Loop Header: Depth=1
	v_mov_b32_e32 v0, 1
	s_and_saveexec_b32 s5, s4
	s_cbranch_execz .LBB4_416
; %bb.420:                              ;   in Loop: Header=BB4_419 Depth=1
	global_load_dword v0, v[10:11], off offset:20 glc dlc
	s_waitcnt vmcnt(0)
	buffer_gl1_inv
	buffer_gl0_inv
	v_and_b32_e32 v0, 1, v0
	s_branch .LBB4_416
.LBB4_421:
	s_and_saveexec_b32 s5, s4
	s_cbranch_execz .LBB4_425
; %bb.422:
	v_mov_b32_e32 v6, 0
	s_clause 0x2
	global_load_dwordx2 v[2:3], v6, s[26:27] offset:40
	global_load_dwordx2 v[7:8], v6, s[26:27] offset:24 glc dlc
	global_load_dwordx2 v[4:5], v6, s[26:27]
	s_waitcnt vmcnt(2)
	v_add_co_u32 v9, vcc_lo, v2, 1
	v_add_co_ci_u32_e32 v10, vcc_lo, 0, v3, vcc_lo
	v_add_co_u32 v0, vcc_lo, v9, s6
	v_add_co_ci_u32_e32 v1, vcc_lo, s7, v10, vcc_lo
	v_cmp_eq_u64_e32 vcc_lo, 0, v[0:1]
	v_cndmask_b32_e32 v1, v1, v10, vcc_lo
	v_cndmask_b32_e32 v0, v0, v9, vcc_lo
	v_and_b32_e32 v3, v1, v3
	v_and_b32_e32 v2, v0, v2
	v_mul_lo_u32 v3, v3, 24
	v_mul_hi_u32 v9, v2, 24
	v_mul_lo_u32 v2, v2, 24
	v_add_nc_u32_e32 v3, v9, v3
	s_waitcnt vmcnt(0)
	v_add_co_u32 v4, vcc_lo, v4, v2
	v_mov_b32_e32 v2, v7
	v_add_co_ci_u32_e32 v5, vcc_lo, v5, v3, vcc_lo
	v_mov_b32_e32 v3, v8
	global_store_dwordx2 v[4:5], v[7:8], off
	s_waitcnt_vscnt null, 0x0
	global_atomic_cmpswap_x2 v[2:3], v6, v[0:3], s[26:27] offset:24 glc
	s_waitcnt vmcnt(0)
	v_cmp_ne_u64_e32 vcc_lo, v[2:3], v[7:8]
	s_and_b32 exec_lo, exec_lo, vcc_lo
	s_cbranch_execz .LBB4_425
; %bb.423:
	s_mov_b32 s4, 0
.LBB4_424:                              ; =>This Inner Loop Header: Depth=1
	s_sleep 1
	global_store_dwordx2 v[4:5], v[2:3], off
	s_waitcnt_vscnt null, 0x0
	global_atomic_cmpswap_x2 v[7:8], v6, v[0:3], s[26:27] offset:24 glc
	s_waitcnt vmcnt(0)
	v_cmp_eq_u64_e32 vcc_lo, v[7:8], v[2:3]
	v_mov_b32_e32 v2, v7
	v_mov_b32_e32 v3, v8
	s_or_b32 s4, vcc_lo, s4
	s_andn2_b32 exec_lo, exec_lo, s4
	s_cbranch_execnz .LBB4_424
.LBB4_425:
	s_or_b32 exec_lo, exec_lo, s5
	v_readfirstlane_b32 s4, v50
	v_mov_b32_e32 v6, 0
	v_mov_b32_e32 v7, 0
	v_cmp_eq_u32_e64 s4, s4, v50
	s_and_saveexec_b32 s5, s4
	s_cbranch_execz .LBB4_431
; %bb.426:
	v_mov_b32_e32 v0, 0
	s_mov_b32 s6, exec_lo
	global_load_dwordx2 v[3:4], v0, s[26:27] offset:24 glc dlc
	s_waitcnt vmcnt(0)
	buffer_gl1_inv
	buffer_gl0_inv
	s_clause 0x1
	global_load_dwordx2 v[1:2], v0, s[26:27] offset:40
	global_load_dwordx2 v[5:6], v0, s[26:27]
	s_waitcnt vmcnt(1)
	v_and_b32_e32 v2, v2, v4
	v_and_b32_e32 v1, v1, v3
	v_mul_lo_u32 v2, v2, 24
	v_mul_hi_u32 v7, v1, 24
	v_mul_lo_u32 v1, v1, 24
	v_add_nc_u32_e32 v2, v7, v2
	s_waitcnt vmcnt(0)
	v_add_co_u32 v1, vcc_lo, v5, v1
	v_add_co_ci_u32_e32 v2, vcc_lo, v6, v2, vcc_lo
	global_load_dwordx2 v[1:2], v[1:2], off glc dlc
	s_waitcnt vmcnt(0)
	global_atomic_cmpswap_x2 v[6:7], v0, v[1:4], s[26:27] offset:24 glc
	s_waitcnt vmcnt(0)
	buffer_gl1_inv
	buffer_gl0_inv
	v_cmpx_ne_u64_e64 v[6:7], v[3:4]
	s_cbranch_execz .LBB4_430
; %bb.427:
	s_mov_b32 s7, 0
	.p2align	6
.LBB4_428:                              ; =>This Inner Loop Header: Depth=1
	s_sleep 1
	s_clause 0x1
	global_load_dwordx2 v[1:2], v0, s[26:27] offset:40
	global_load_dwordx2 v[8:9], v0, s[26:27]
	v_mov_b32_e32 v3, v6
	v_mov_b32_e32 v4, v7
	s_waitcnt vmcnt(1)
	v_and_b32_e32 v1, v1, v3
	v_and_b32_e32 v2, v2, v4
	s_waitcnt vmcnt(0)
	v_mad_u64_u32 v[5:6], null, v1, 24, v[8:9]
	v_mov_b32_e32 v1, v6
	v_mad_u64_u32 v[1:2], null, v2, 24, v[1:2]
	v_mov_b32_e32 v6, v1
	global_load_dwordx2 v[1:2], v[5:6], off glc dlc
	s_waitcnt vmcnt(0)
	global_atomic_cmpswap_x2 v[6:7], v0, v[1:4], s[26:27] offset:24 glc
	s_waitcnt vmcnt(0)
	buffer_gl1_inv
	buffer_gl0_inv
	v_cmp_eq_u64_e32 vcc_lo, v[6:7], v[3:4]
	s_or_b32 s7, vcc_lo, s7
	s_andn2_b32 exec_lo, exec_lo, s7
	s_cbranch_execnz .LBB4_428
; %bb.429:
	s_or_b32 exec_lo, exec_lo, s7
.LBB4_430:
	s_or_b32 exec_lo, exec_lo, s6
.LBB4_431:
	s_or_b32 exec_lo, exec_lo, s5
	v_mov_b32_e32 v5, 0
	v_readfirstlane_b32 s6, v6
	v_readfirstlane_b32 s7, v7
	s_mov_b32 s5, exec_lo
	s_clause 0x1
	global_load_dwordx2 v[8:9], v5, s[26:27] offset:40
	global_load_dwordx4 v[0:3], v5, s[26:27]
	s_waitcnt vmcnt(1)
	v_readfirstlane_b32 s10, v8
	v_readfirstlane_b32 s11, v9
	s_and_b64 s[10:11], s[6:7], s[10:11]
	s_mul_i32 s16, s11, 24
	s_mul_hi_u32 s17, s10, 24
	s_mul_i32 s18, s10, 24
	s_add_i32 s17, s17, s16
	s_waitcnt vmcnt(0)
	v_add_co_u32 v8, vcc_lo, v0, s18
	v_add_co_ci_u32_e32 v9, vcc_lo, s17, v1, vcc_lo
	s_and_saveexec_b32 s16, s4
	s_cbranch_execz .LBB4_433
; %bb.432:
	v_mov_b32_e32 v4, s5
	v_mov_b32_e32 v6, 2
	;; [unrolled: 1-line block ×3, first 2 shown]
	global_store_dwordx4 v[8:9], v[4:7], off offset:8
.LBB4_433:
	s_or_b32 exec_lo, exec_lo, s16
	s_lshl_b64 s[10:11], s[10:11], 12
	s_mov_b32 s16, 0
	v_add_co_u32 v2, vcc_lo, v2, s10
	v_add_co_ci_u32_e32 v3, vcc_lo, s11, v3, vcc_lo
	s_mov_b32 s17, s16
	v_add_co_u32 v10, vcc_lo, v2, v39
	s_mov_b32 s18, s16
	s_mov_b32 s19, s16
	v_mov_b32_e32 v4, 33
	v_mov_b32_e32 v6, v5
	;; [unrolled: 1-line block ×3, first 2 shown]
	v_readfirstlane_b32 s10, v2
	v_readfirstlane_b32 s11, v3
	v_mov_b32_e32 v12, s16
	v_add_co_ci_u32_e32 v11, vcc_lo, 0, v3, vcc_lo
	v_mov_b32_e32 v13, s17
	v_mov_b32_e32 v14, s18
	;; [unrolled: 1-line block ×3, first 2 shown]
	global_store_dwordx4 v39, v[4:7], s[10:11]
	global_store_dwordx4 v39, v[12:15], s[10:11] offset:16
	global_store_dwordx4 v39, v[12:15], s[10:11] offset:32
	global_store_dwordx4 v39, v[12:15], s[10:11] offset:48
	s_and_saveexec_b32 s5, s4
	s_cbranch_execz .LBB4_441
; %bb.434:
	v_mov_b32_e32 v6, 0
	v_mov_b32_e32 v12, s6
	;; [unrolled: 1-line block ×3, first 2 shown]
	s_clause 0x1
	global_load_dwordx2 v[14:15], v6, s[26:27] offset:32 glc dlc
	global_load_dwordx2 v[2:3], v6, s[26:27] offset:40
	s_waitcnt vmcnt(0)
	v_readfirstlane_b32 s10, v2
	v_readfirstlane_b32 s11, v3
	s_and_b64 s[10:11], s[10:11], s[6:7]
	s_mul_i32 s11, s11, 24
	s_mul_hi_u32 s16, s10, 24
	s_mul_i32 s10, s10, 24
	s_add_i32 s16, s16, s11
	v_add_co_u32 v4, vcc_lo, v0, s10
	v_add_co_ci_u32_e32 v5, vcc_lo, s16, v1, vcc_lo
	s_mov_b32 s10, exec_lo
	global_store_dwordx2 v[4:5], v[14:15], off
	s_waitcnt_vscnt null, 0x0
	global_atomic_cmpswap_x2 v[2:3], v6, v[12:15], s[26:27] offset:32 glc
	s_waitcnt vmcnt(0)
	v_cmpx_ne_u64_e64 v[2:3], v[14:15]
	s_cbranch_execz .LBB4_437
; %bb.435:
	s_mov_b32 s11, 0
.LBB4_436:                              ; =>This Inner Loop Header: Depth=1
	v_mov_b32_e32 v0, s6
	v_mov_b32_e32 v1, s7
	s_sleep 1
	global_store_dwordx2 v[4:5], v[2:3], off
	s_waitcnt_vscnt null, 0x0
	global_atomic_cmpswap_x2 v[0:1], v6, v[0:3], s[26:27] offset:32 glc
	s_waitcnt vmcnt(0)
	v_cmp_eq_u64_e32 vcc_lo, v[0:1], v[2:3]
	v_mov_b32_e32 v3, v1
	v_mov_b32_e32 v2, v0
	s_or_b32 s11, vcc_lo, s11
	s_andn2_b32 exec_lo, exec_lo, s11
	s_cbranch_execnz .LBB4_436
.LBB4_437:
	s_or_b32 exec_lo, exec_lo, s10
	v_mov_b32_e32 v3, 0
	s_mov_b32 s11, exec_lo
	s_mov_b32 s10, exec_lo
	v_mbcnt_lo_u32_b32 v2, s11, 0
	global_load_dwordx2 v[0:1], v3, s[26:27] offset:16
	v_cmpx_eq_u32_e32 0, v2
	s_cbranch_execz .LBB4_439
; %bb.438:
	s_bcnt1_i32_b32 s11, s11
	v_mov_b32_e32 v2, s11
	s_waitcnt vmcnt(0)
	global_atomic_add_x2 v[0:1], v[2:3], off offset:8
.LBB4_439:
	s_or_b32 exec_lo, exec_lo, s10
	s_waitcnt vmcnt(0)
	global_load_dwordx2 v[2:3], v[0:1], off offset:16
	s_waitcnt vmcnt(0)
	v_cmp_eq_u64_e32 vcc_lo, 0, v[2:3]
	s_cbranch_vccnz .LBB4_441
; %bb.440:
	global_load_dword v0, v[0:1], off offset:24
	v_mov_b32_e32 v1, 0
	s_waitcnt vmcnt(0)
	v_and_b32_e32 v4, 0x7fffff, v0
	s_waitcnt_vscnt null, 0x0
	global_store_dwordx2 v[2:3], v[0:1], off
	v_readfirstlane_b32 m0, v4
	s_sendmsg sendmsg(MSG_INTERRUPT)
.LBB4_441:
	s_or_b32 exec_lo, exec_lo, s5
	s_branch .LBB4_445
	.p2align	6
.LBB4_442:                              ;   in Loop: Header=BB4_445 Depth=1
	s_or_b32 exec_lo, exec_lo, s5
	v_readfirstlane_b32 s5, v0
	s_cmp_eq_u32 s5, 0
	s_cbranch_scc1 .LBB4_444
; %bb.443:                              ;   in Loop: Header=BB4_445 Depth=1
	s_sleep 1
	s_cbranch_execnz .LBB4_445
	s_branch .LBB4_447
	.p2align	6
.LBB4_444:
	s_branch .LBB4_447
.LBB4_445:                              ; =>This Inner Loop Header: Depth=1
	v_mov_b32_e32 v0, 1
	s_and_saveexec_b32 s5, s4
	s_cbranch_execz .LBB4_442
; %bb.446:                              ;   in Loop: Header=BB4_445 Depth=1
	global_load_dword v0, v[8:9], off offset:20 glc dlc
	s_waitcnt vmcnt(0)
	buffer_gl1_inv
	buffer_gl0_inv
	v_and_b32_e32 v0, 1, v0
	s_branch .LBB4_442
.LBB4_447:
	global_load_dwordx2 v[4:5], v[10:11], off
	s_and_saveexec_b32 s5, s4
	s_cbranch_execz .LBB4_451
; %bb.448:
	v_mov_b32_e32 v8, 0
	s_clause 0x2
	global_load_dwordx2 v[2:3], v8, s[26:27] offset:40
	global_load_dwordx2 v[9:10], v8, s[26:27] offset:24 glc dlc
	global_load_dwordx2 v[6:7], v8, s[26:27]
	s_waitcnt vmcnt(2)
	v_add_co_u32 v11, vcc_lo, v2, 1
	v_add_co_ci_u32_e32 v12, vcc_lo, 0, v3, vcc_lo
	v_add_co_u32 v0, vcc_lo, v11, s6
	v_add_co_ci_u32_e32 v1, vcc_lo, s7, v12, vcc_lo
	v_cmp_eq_u64_e32 vcc_lo, 0, v[0:1]
	v_cndmask_b32_e32 v1, v1, v12, vcc_lo
	v_cndmask_b32_e32 v0, v0, v11, vcc_lo
	v_and_b32_e32 v3, v1, v3
	v_and_b32_e32 v2, v0, v2
	v_mul_lo_u32 v3, v3, 24
	v_mul_hi_u32 v11, v2, 24
	v_mul_lo_u32 v2, v2, 24
	v_add_nc_u32_e32 v3, v11, v3
	s_waitcnt vmcnt(0)
	v_add_co_u32 v6, vcc_lo, v6, v2
	v_mov_b32_e32 v2, v9
	v_add_co_ci_u32_e32 v7, vcc_lo, v7, v3, vcc_lo
	v_mov_b32_e32 v3, v10
	global_store_dwordx2 v[6:7], v[9:10], off
	s_waitcnt_vscnt null, 0x0
	global_atomic_cmpswap_x2 v[2:3], v8, v[0:3], s[26:27] offset:24 glc
	s_waitcnt vmcnt(0)
	v_cmp_ne_u64_e32 vcc_lo, v[2:3], v[9:10]
	s_and_b32 exec_lo, exec_lo, vcc_lo
	s_cbranch_execz .LBB4_451
; %bb.449:
	s_mov_b32 s4, 0
.LBB4_450:                              ; =>This Inner Loop Header: Depth=1
	s_sleep 1
	global_store_dwordx2 v[6:7], v[2:3], off
	s_waitcnt_vscnt null, 0x0
	global_atomic_cmpswap_x2 v[9:10], v8, v[0:3], s[26:27] offset:24 glc
	s_waitcnt vmcnt(0)
	v_cmp_eq_u64_e32 vcc_lo, v[9:10], v[2:3]
	v_mov_b32_e32 v2, v9
	v_mov_b32_e32 v3, v10
	s_or_b32 s4, vcc_lo, s4
	s_andn2_b32 exec_lo, exec_lo, s4
	s_cbranch_execnz .LBB4_450
.LBB4_451:
	s_or_b32 exec_lo, exec_lo, s5
	s_and_b32 vcc_lo, exec_lo, s15
	s_cbranch_vccz .LBB4_530
; %bb.452:
	s_waitcnt vmcnt(0)
	v_and_b32_e32 v28, 2, v4
	v_mov_b32_e32 v7, 0
	v_and_b32_e32 v0, -3, v4
	v_mov_b32_e32 v1, v5
	v_mov_b32_e32 v8, 2
	;; [unrolled: 1-line block ×3, first 2 shown]
	s_mov_b64 s[10:11], 3
	s_getpc_b64 s[6:7]
	s_add_u32 s6, s6, .str.5@rel32@lo+4
	s_addc_u32 s7, s7, .str.5@rel32@hi+12
	s_branch .LBB4_454
.LBB4_453:                              ;   in Loop: Header=BB4_454 Depth=1
	s_or_b32 exec_lo, exec_lo, s5
	s_sub_u32 s10, s10, s16
	s_subb_u32 s11, s11, s17
	s_add_u32 s6, s6, s16
	s_addc_u32 s7, s7, s17
	s_cmp_lg_u64 s[10:11], 0
	s_cbranch_scc0 .LBB4_529
.LBB4_454:                              ; =>This Loop Header: Depth=1
                                        ;     Child Loop BB4_463 Depth 2
                                        ;     Child Loop BB4_459 Depth 2
	;; [unrolled: 1-line block ×11, first 2 shown]
	v_cmp_lt_u64_e64 s4, s[10:11], 56
	v_cmp_gt_u64_e64 s5, s[10:11], 7
                                        ; implicit-def: $vgpr2_vgpr3
                                        ; implicit-def: $sgpr22
	s_and_b32 s4, s4, exec_lo
	s_cselect_b32 s17, s11, 0
	s_cselect_b32 s16, s10, 56
	s_and_b32 vcc_lo, exec_lo, s5
	s_mov_b32 s4, -1
	s_cbranch_vccz .LBB4_461
; %bb.455:                              ;   in Loop: Header=BB4_454 Depth=1
	s_andn2_b32 vcc_lo, exec_lo, s4
	s_mov_b64 s[4:5], s[6:7]
	s_cbranch_vccz .LBB4_465
.LBB4_456:                              ;   in Loop: Header=BB4_454 Depth=1
	s_cmp_gt_u32 s22, 7
	s_cbranch_scc1 .LBB4_466
.LBB4_457:                              ;   in Loop: Header=BB4_454 Depth=1
	v_mov_b32_e32 v10, 0
	v_mov_b32_e32 v11, 0
	s_cmp_eq_u32 s22, 0
	s_cbranch_scc1 .LBB4_460
; %bb.458:                              ;   in Loop: Header=BB4_454 Depth=1
	s_mov_b64 s[18:19], 0
	s_mov_b64 s[20:21], 0
.LBB4_459:                              ;   Parent Loop BB4_454 Depth=1
                                        ; =>  This Inner Loop Header: Depth=2
	s_add_u32 s24, s4, s20
	s_addc_u32 s25, s5, s21
	s_add_u32 s20, s20, 1
	global_load_ubyte v6, v7, s[24:25]
	s_addc_u32 s21, s21, 0
	s_waitcnt vmcnt(0)
	v_and_b32_e32 v6, 0xffff, v6
	v_lshlrev_b64 v[12:13], s18, v[6:7]
	s_add_u32 s18, s18, 8
	s_addc_u32 s19, s19, 0
	s_cmp_lg_u32 s22, s20
	v_or_b32_e32 v10, v12, v10
	v_or_b32_e32 v11, v13, v11
	s_cbranch_scc1 .LBB4_459
.LBB4_460:                              ;   in Loop: Header=BB4_454 Depth=1
	s_mov_b32 s23, 0
	s_cbranch_execz .LBB4_467
	s_branch .LBB4_468
.LBB4_461:                              ;   in Loop: Header=BB4_454 Depth=1
	s_waitcnt vmcnt(0)
	v_mov_b32_e32 v2, 0
	v_mov_b32_e32 v3, 0
	s_cmp_eq_u64 s[10:11], 0
	s_mov_b64 s[4:5], 0
	s_cbranch_scc1 .LBB4_464
; %bb.462:                              ;   in Loop: Header=BB4_454 Depth=1
	v_mov_b32_e32 v2, 0
	v_mov_b32_e32 v3, 0
	s_lshl_b64 s[18:19], s[16:17], 3
	s_mov_b64 s[20:21], s[6:7]
.LBB4_463:                              ;   Parent Loop BB4_454 Depth=1
                                        ; =>  This Inner Loop Header: Depth=2
	global_load_ubyte v6, v7, s[20:21]
	s_waitcnt vmcnt(0)
	v_and_b32_e32 v6, 0xffff, v6
	v_lshlrev_b64 v[10:11], s4, v[6:7]
	s_add_u32 s4, s4, 8
	s_addc_u32 s5, s5, 0
	s_add_u32 s20, s20, 1
	s_addc_u32 s21, s21, 0
	s_cmp_lg_u32 s18, s4
	v_or_b32_e32 v2, v10, v2
	v_or_b32_e32 v3, v11, v3
	s_cbranch_scc1 .LBB4_463
.LBB4_464:                              ;   in Loop: Header=BB4_454 Depth=1
	s_mov_b32 s22, 0
	s_mov_b64 s[4:5], s[6:7]
	s_cbranch_execnz .LBB4_456
.LBB4_465:                              ;   in Loop: Header=BB4_454 Depth=1
	global_load_dwordx2 v[2:3], v7, s[6:7]
	s_add_i32 s22, s16, -8
	s_add_u32 s4, s6, 8
	s_addc_u32 s5, s7, 0
	s_cmp_gt_u32 s22, 7
	s_cbranch_scc0 .LBB4_457
.LBB4_466:                              ;   in Loop: Header=BB4_454 Depth=1
                                        ; implicit-def: $vgpr10_vgpr11
                                        ; implicit-def: $sgpr23
.LBB4_467:                              ;   in Loop: Header=BB4_454 Depth=1
	global_load_dwordx2 v[10:11], v7, s[4:5]
	s_add_i32 s23, s22, -8
	s_add_u32 s4, s4, 8
	s_addc_u32 s5, s5, 0
.LBB4_468:                              ;   in Loop: Header=BB4_454 Depth=1
	s_cmp_gt_u32 s23, 7
	s_cbranch_scc1 .LBB4_473
; %bb.469:                              ;   in Loop: Header=BB4_454 Depth=1
	v_mov_b32_e32 v12, 0
	v_mov_b32_e32 v13, 0
	s_cmp_eq_u32 s23, 0
	s_cbranch_scc1 .LBB4_472
; %bb.470:                              ;   in Loop: Header=BB4_454 Depth=1
	s_mov_b64 s[18:19], 0
	s_mov_b64 s[20:21], 0
.LBB4_471:                              ;   Parent Loop BB4_454 Depth=1
                                        ; =>  This Inner Loop Header: Depth=2
	s_add_u32 s24, s4, s20
	s_addc_u32 s25, s5, s21
	s_add_u32 s20, s20, 1
	global_load_ubyte v6, v7, s[24:25]
	s_addc_u32 s21, s21, 0
	s_waitcnt vmcnt(0)
	v_and_b32_e32 v6, 0xffff, v6
	v_lshlrev_b64 v[14:15], s18, v[6:7]
	s_add_u32 s18, s18, 8
	s_addc_u32 s19, s19, 0
	s_cmp_lg_u32 s23, s20
	v_or_b32_e32 v12, v14, v12
	v_or_b32_e32 v13, v15, v13
	s_cbranch_scc1 .LBB4_471
.LBB4_472:                              ;   in Loop: Header=BB4_454 Depth=1
	s_mov_b32 s22, 0
	s_cbranch_execz .LBB4_474
	s_branch .LBB4_475
.LBB4_473:                              ;   in Loop: Header=BB4_454 Depth=1
                                        ; implicit-def: $sgpr22
.LBB4_474:                              ;   in Loop: Header=BB4_454 Depth=1
	global_load_dwordx2 v[12:13], v7, s[4:5]
	s_add_i32 s22, s23, -8
	s_add_u32 s4, s4, 8
	s_addc_u32 s5, s5, 0
.LBB4_475:                              ;   in Loop: Header=BB4_454 Depth=1
	s_cmp_gt_u32 s22, 7
	s_cbranch_scc1 .LBB4_480
; %bb.476:                              ;   in Loop: Header=BB4_454 Depth=1
	v_mov_b32_e32 v14, 0
	v_mov_b32_e32 v15, 0
	s_cmp_eq_u32 s22, 0
	s_cbranch_scc1 .LBB4_479
; %bb.477:                              ;   in Loop: Header=BB4_454 Depth=1
	s_mov_b64 s[18:19], 0
	s_mov_b64 s[20:21], 0
.LBB4_478:                              ;   Parent Loop BB4_454 Depth=1
                                        ; =>  This Inner Loop Header: Depth=2
	s_add_u32 s24, s4, s20
	s_addc_u32 s25, s5, s21
	s_add_u32 s20, s20, 1
	global_load_ubyte v6, v7, s[24:25]
	s_addc_u32 s21, s21, 0
	s_waitcnt vmcnt(0)
	v_and_b32_e32 v6, 0xffff, v6
	v_lshlrev_b64 v[16:17], s18, v[6:7]
	s_add_u32 s18, s18, 8
	s_addc_u32 s19, s19, 0
	s_cmp_lg_u32 s22, s20
	v_or_b32_e32 v14, v16, v14
	v_or_b32_e32 v15, v17, v15
	s_cbranch_scc1 .LBB4_478
.LBB4_479:                              ;   in Loop: Header=BB4_454 Depth=1
	s_mov_b32 s23, 0
	s_cbranch_execz .LBB4_481
	s_branch .LBB4_482
.LBB4_480:                              ;   in Loop: Header=BB4_454 Depth=1
                                        ; implicit-def: $vgpr14_vgpr15
                                        ; implicit-def: $sgpr23
.LBB4_481:                              ;   in Loop: Header=BB4_454 Depth=1
	global_load_dwordx2 v[14:15], v7, s[4:5]
	s_add_i32 s23, s22, -8
	s_add_u32 s4, s4, 8
	s_addc_u32 s5, s5, 0
.LBB4_482:                              ;   in Loop: Header=BB4_454 Depth=1
	s_cmp_gt_u32 s23, 7
	s_cbranch_scc1 .LBB4_487
; %bb.483:                              ;   in Loop: Header=BB4_454 Depth=1
	v_mov_b32_e32 v16, 0
	v_mov_b32_e32 v17, 0
	s_cmp_eq_u32 s23, 0
	s_cbranch_scc1 .LBB4_486
; %bb.484:                              ;   in Loop: Header=BB4_454 Depth=1
	s_mov_b64 s[18:19], 0
	s_mov_b64 s[20:21], 0
.LBB4_485:                              ;   Parent Loop BB4_454 Depth=1
                                        ; =>  This Inner Loop Header: Depth=2
	s_add_u32 s24, s4, s20
	s_addc_u32 s25, s5, s21
	s_add_u32 s20, s20, 1
	global_load_ubyte v6, v7, s[24:25]
	s_addc_u32 s21, s21, 0
	s_waitcnt vmcnt(0)
	v_and_b32_e32 v6, 0xffff, v6
	v_lshlrev_b64 v[18:19], s18, v[6:7]
	s_add_u32 s18, s18, 8
	s_addc_u32 s19, s19, 0
	s_cmp_lg_u32 s23, s20
	v_or_b32_e32 v16, v18, v16
	v_or_b32_e32 v17, v19, v17
	s_cbranch_scc1 .LBB4_485
.LBB4_486:                              ;   in Loop: Header=BB4_454 Depth=1
	s_mov_b32 s22, 0
	s_cbranch_execz .LBB4_488
	s_branch .LBB4_489
.LBB4_487:                              ;   in Loop: Header=BB4_454 Depth=1
                                        ; implicit-def: $sgpr22
.LBB4_488:                              ;   in Loop: Header=BB4_454 Depth=1
	global_load_dwordx2 v[16:17], v7, s[4:5]
	s_add_i32 s22, s23, -8
	s_add_u32 s4, s4, 8
	s_addc_u32 s5, s5, 0
.LBB4_489:                              ;   in Loop: Header=BB4_454 Depth=1
	s_cmp_gt_u32 s22, 7
	s_cbranch_scc1 .LBB4_494
; %bb.490:                              ;   in Loop: Header=BB4_454 Depth=1
	v_mov_b32_e32 v18, 0
	v_mov_b32_e32 v19, 0
	s_cmp_eq_u32 s22, 0
	s_cbranch_scc1 .LBB4_493
; %bb.491:                              ;   in Loop: Header=BB4_454 Depth=1
	s_mov_b64 s[18:19], 0
	s_mov_b64 s[20:21], 0
.LBB4_492:                              ;   Parent Loop BB4_454 Depth=1
                                        ; =>  This Inner Loop Header: Depth=2
	s_add_u32 s24, s4, s20
	s_addc_u32 s25, s5, s21
	s_add_u32 s20, s20, 1
	global_load_ubyte v6, v7, s[24:25]
	s_addc_u32 s21, s21, 0
	s_waitcnt vmcnt(0)
	v_and_b32_e32 v6, 0xffff, v6
	v_lshlrev_b64 v[20:21], s18, v[6:7]
	s_add_u32 s18, s18, 8
	s_addc_u32 s19, s19, 0
	s_cmp_lg_u32 s22, s20
	v_or_b32_e32 v18, v20, v18
	v_or_b32_e32 v19, v21, v19
	s_cbranch_scc1 .LBB4_492
.LBB4_493:                              ;   in Loop: Header=BB4_454 Depth=1
	s_mov_b32 s23, 0
	s_cbranch_execz .LBB4_495
	s_branch .LBB4_496
.LBB4_494:                              ;   in Loop: Header=BB4_454 Depth=1
                                        ; implicit-def: $vgpr18_vgpr19
                                        ; implicit-def: $sgpr23
.LBB4_495:                              ;   in Loop: Header=BB4_454 Depth=1
	global_load_dwordx2 v[18:19], v7, s[4:5]
	s_add_i32 s23, s22, -8
	s_add_u32 s4, s4, 8
	s_addc_u32 s5, s5, 0
.LBB4_496:                              ;   in Loop: Header=BB4_454 Depth=1
	s_cmp_gt_u32 s23, 7
	s_cbranch_scc1 .LBB4_501
; %bb.497:                              ;   in Loop: Header=BB4_454 Depth=1
	v_mov_b32_e32 v20, 0
	v_mov_b32_e32 v21, 0
	s_cmp_eq_u32 s23, 0
	s_cbranch_scc1 .LBB4_500
; %bb.498:                              ;   in Loop: Header=BB4_454 Depth=1
	s_mov_b64 s[18:19], 0
	s_mov_b64 s[20:21], s[4:5]
.LBB4_499:                              ;   Parent Loop BB4_454 Depth=1
                                        ; =>  This Inner Loop Header: Depth=2
	global_load_ubyte v6, v7, s[20:21]
	s_add_i32 s23, s23, -1
	s_waitcnt vmcnt(0)
	v_and_b32_e32 v6, 0xffff, v6
	v_lshlrev_b64 v[22:23], s18, v[6:7]
	s_add_u32 s18, s18, 8
	s_addc_u32 s19, s19, 0
	s_add_u32 s20, s20, 1
	s_addc_u32 s21, s21, 0
	s_cmp_lg_u32 s23, 0
	v_or_b32_e32 v20, v22, v20
	v_or_b32_e32 v21, v23, v21
	s_cbranch_scc1 .LBB4_499
.LBB4_500:                              ;   in Loop: Header=BB4_454 Depth=1
	s_cbranch_execz .LBB4_502
	s_branch .LBB4_503
.LBB4_501:                              ;   in Loop: Header=BB4_454 Depth=1
.LBB4_502:                              ;   in Loop: Header=BB4_454 Depth=1
	global_load_dwordx2 v[20:21], v7, s[4:5]
.LBB4_503:                              ;   in Loop: Header=BB4_454 Depth=1
	v_readfirstlane_b32 s4, v50
	v_mov_b32_e32 v26, 0
	v_mov_b32_e32 v27, 0
	v_cmp_eq_u32_e64 s4, s4, v50
	s_and_saveexec_b32 s5, s4
	s_cbranch_execz .LBB4_509
; %bb.504:                              ;   in Loop: Header=BB4_454 Depth=1
	global_load_dwordx2 v[24:25], v7, s[26:27] offset:24 glc dlc
	s_waitcnt vmcnt(0)
	buffer_gl1_inv
	buffer_gl0_inv
	s_clause 0x1
	global_load_dwordx2 v[22:23], v7, s[26:27] offset:40
	global_load_dwordx2 v[26:27], v7, s[26:27]
	s_mov_b32 s18, exec_lo
	s_waitcnt vmcnt(1)
	v_and_b32_e32 v6, v23, v25
	v_and_b32_e32 v22, v22, v24
	v_mul_lo_u32 v6, v6, 24
	v_mul_hi_u32 v23, v22, 24
	v_mul_lo_u32 v22, v22, 24
	v_add_nc_u32_e32 v6, v23, v6
	s_waitcnt vmcnt(0)
	v_add_co_u32 v22, vcc_lo, v26, v22
	v_add_co_ci_u32_e32 v23, vcc_lo, v27, v6, vcc_lo
	global_load_dwordx2 v[22:23], v[22:23], off glc dlc
	s_waitcnt vmcnt(0)
	global_atomic_cmpswap_x2 v[26:27], v7, v[22:25], s[26:27] offset:24 glc
	s_waitcnt vmcnt(0)
	buffer_gl1_inv
	buffer_gl0_inv
	v_cmpx_ne_u64_e64 v[26:27], v[24:25]
	s_cbranch_execz .LBB4_508
; %bb.505:                              ;   in Loop: Header=BB4_454 Depth=1
	s_mov_b32 s19, 0
	.p2align	6
.LBB4_506:                              ;   Parent Loop BB4_454 Depth=1
                                        ; =>  This Inner Loop Header: Depth=2
	s_sleep 1
	s_clause 0x1
	global_load_dwordx2 v[22:23], v7, s[26:27] offset:40
	global_load_dwordx2 v[29:30], v7, s[26:27]
	v_mov_b32_e32 v24, v26
	v_mov_b32_e32 v25, v27
	s_waitcnt vmcnt(1)
	v_and_b32_e32 v6, v22, v24
	v_and_b32_e32 v22, v23, v25
	s_waitcnt vmcnt(0)
	v_mad_u64_u32 v[26:27], null, v6, 24, v[29:30]
	v_mov_b32_e32 v6, v27
	v_mad_u64_u32 v[22:23], null, v22, 24, v[6:7]
	v_mov_b32_e32 v27, v22
	global_load_dwordx2 v[22:23], v[26:27], off glc dlc
	s_waitcnt vmcnt(0)
	global_atomic_cmpswap_x2 v[26:27], v7, v[22:25], s[26:27] offset:24 glc
	s_waitcnt vmcnt(0)
	buffer_gl1_inv
	buffer_gl0_inv
	v_cmp_eq_u64_e32 vcc_lo, v[26:27], v[24:25]
	s_or_b32 s19, vcc_lo, s19
	s_andn2_b32 exec_lo, exec_lo, s19
	s_cbranch_execnz .LBB4_506
; %bb.507:                              ;   in Loop: Header=BB4_454 Depth=1
	s_or_b32 exec_lo, exec_lo, s19
.LBB4_508:                              ;   in Loop: Header=BB4_454 Depth=1
	s_or_b32 exec_lo, exec_lo, s18
.LBB4_509:                              ;   in Loop: Header=BB4_454 Depth=1
	s_or_b32 exec_lo, exec_lo, s5
	s_clause 0x1
	global_load_dwordx2 v[29:30], v7, s[26:27] offset:40
	global_load_dwordx4 v[22:25], v7, s[26:27]
	v_readfirstlane_b32 s18, v26
	v_readfirstlane_b32 s19, v27
	s_mov_b32 s5, exec_lo
	s_waitcnt vmcnt(1)
	v_readfirstlane_b32 s20, v29
	v_readfirstlane_b32 s21, v30
	s_and_b64 s[20:21], s[18:19], s[20:21]
	s_mul_i32 s22, s21, 24
	s_mul_hi_u32 s23, s20, 24
	s_mul_i32 s24, s20, 24
	s_add_i32 s23, s23, s22
	s_waitcnt vmcnt(0)
	v_add_co_u32 v26, vcc_lo, v22, s24
	v_add_co_ci_u32_e32 v27, vcc_lo, s23, v23, vcc_lo
	s_and_saveexec_b32 s22, s4
	s_cbranch_execz .LBB4_511
; %bb.510:                              ;   in Loop: Header=BB4_454 Depth=1
	v_mov_b32_e32 v6, s5
	global_store_dwordx4 v[26:27], v[6:9], off offset:8
.LBB4_511:                              ;   in Loop: Header=BB4_454 Depth=1
	s_or_b32 exec_lo, exec_lo, s22
	s_lshl_b64 s[20:21], s[20:21], 12
	v_cmp_gt_u64_e64 vcc_lo, s[10:11], 56
	v_or_b32_e32 v29, v0, v28
	v_add_co_u32 v24, s5, v24, s20
	v_add_co_ci_u32_e64 v25, s5, s21, v25, s5
	s_lshl_b32 s5, s16, 2
	v_or_b32_e32 v6, 0, v1
	v_cndmask_b32_e32 v0, v29, v0, vcc_lo
	s_add_i32 s5, s5, 28
	v_readfirstlane_b32 s20, v24
	s_and_b32 s5, s5, 0x1e0
	v_cndmask_b32_e32 v1, v6, v1, vcc_lo
	v_readfirstlane_b32 s21, v25
	v_and_or_b32 v0, 0xffffff1f, v0, s5
	global_store_dwordx4 v39, v[0:3], s[20:21]
	global_store_dwordx4 v39, v[10:13], s[20:21] offset:16
	global_store_dwordx4 v39, v[14:17], s[20:21] offset:32
	;; [unrolled: 1-line block ×3, first 2 shown]
	s_and_saveexec_b32 s5, s4
	s_cbranch_execz .LBB4_519
; %bb.512:                              ;   in Loop: Header=BB4_454 Depth=1
	s_clause 0x1
	global_load_dwordx2 v[14:15], v7, s[26:27] offset:32 glc dlc
	global_load_dwordx2 v[0:1], v7, s[26:27] offset:40
	v_mov_b32_e32 v12, s18
	v_mov_b32_e32 v13, s19
	s_waitcnt vmcnt(0)
	v_readfirstlane_b32 s20, v0
	v_readfirstlane_b32 s21, v1
	s_and_b64 s[20:21], s[20:21], s[18:19]
	s_mul_i32 s21, s21, 24
	s_mul_hi_u32 s22, s20, 24
	s_mul_i32 s20, s20, 24
	s_add_i32 s22, s22, s21
	v_add_co_u32 v10, vcc_lo, v22, s20
	v_add_co_ci_u32_e32 v11, vcc_lo, s22, v23, vcc_lo
	s_mov_b32 s20, exec_lo
	global_store_dwordx2 v[10:11], v[14:15], off
	s_waitcnt_vscnt null, 0x0
	global_atomic_cmpswap_x2 v[2:3], v7, v[12:15], s[26:27] offset:32 glc
	s_waitcnt vmcnt(0)
	v_cmpx_ne_u64_e64 v[2:3], v[14:15]
	s_cbranch_execz .LBB4_515
; %bb.513:                              ;   in Loop: Header=BB4_454 Depth=1
	s_mov_b32 s21, 0
.LBB4_514:                              ;   Parent Loop BB4_454 Depth=1
                                        ; =>  This Inner Loop Header: Depth=2
	v_mov_b32_e32 v0, s18
	v_mov_b32_e32 v1, s19
	s_sleep 1
	global_store_dwordx2 v[10:11], v[2:3], off
	s_waitcnt_vscnt null, 0x0
	global_atomic_cmpswap_x2 v[0:1], v7, v[0:3], s[26:27] offset:32 glc
	s_waitcnt vmcnt(0)
	v_cmp_eq_u64_e32 vcc_lo, v[0:1], v[2:3]
	v_mov_b32_e32 v3, v1
	v_mov_b32_e32 v2, v0
	s_or_b32 s21, vcc_lo, s21
	s_andn2_b32 exec_lo, exec_lo, s21
	s_cbranch_execnz .LBB4_514
.LBB4_515:                              ;   in Loop: Header=BB4_454 Depth=1
	s_or_b32 exec_lo, exec_lo, s20
	global_load_dwordx2 v[0:1], v7, s[26:27] offset:16
	s_mov_b32 s21, exec_lo
	s_mov_b32 s20, exec_lo
	v_mbcnt_lo_u32_b32 v2, s21, 0
	v_cmpx_eq_u32_e32 0, v2
	s_cbranch_execz .LBB4_517
; %bb.516:                              ;   in Loop: Header=BB4_454 Depth=1
	s_bcnt1_i32_b32 s21, s21
	v_mov_b32_e32 v6, s21
	s_waitcnt vmcnt(0)
	global_atomic_add_x2 v[0:1], v[6:7], off offset:8
.LBB4_517:                              ;   in Loop: Header=BB4_454 Depth=1
	s_or_b32 exec_lo, exec_lo, s20
	s_waitcnt vmcnt(0)
	global_load_dwordx2 v[2:3], v[0:1], off offset:16
	s_waitcnt vmcnt(0)
	v_cmp_eq_u64_e32 vcc_lo, 0, v[2:3]
	s_cbranch_vccnz .LBB4_519
; %bb.518:                              ;   in Loop: Header=BB4_454 Depth=1
	global_load_dword v6, v[0:1], off offset:24
	s_waitcnt vmcnt(0)
	v_and_b32_e32 v0, 0x7fffff, v6
	s_waitcnt_vscnt null, 0x0
	global_store_dwordx2 v[2:3], v[6:7], off
	v_readfirstlane_b32 m0, v0
	s_sendmsg sendmsg(MSG_INTERRUPT)
.LBB4_519:                              ;   in Loop: Header=BB4_454 Depth=1
	s_or_b32 exec_lo, exec_lo, s5
	v_add_co_u32 v0, vcc_lo, v24, v39
	v_add_co_ci_u32_e32 v1, vcc_lo, 0, v25, vcc_lo
	s_branch .LBB4_523
	.p2align	6
.LBB4_520:                              ;   in Loop: Header=BB4_523 Depth=2
	s_or_b32 exec_lo, exec_lo, s5
	v_readfirstlane_b32 s5, v2
	s_cmp_eq_u32 s5, 0
	s_cbranch_scc1 .LBB4_522
; %bb.521:                              ;   in Loop: Header=BB4_523 Depth=2
	s_sleep 1
	s_cbranch_execnz .LBB4_523
	s_branch .LBB4_525
	.p2align	6
.LBB4_522:                              ;   in Loop: Header=BB4_454 Depth=1
	s_branch .LBB4_525
.LBB4_523:                              ;   Parent Loop BB4_454 Depth=1
                                        ; =>  This Inner Loop Header: Depth=2
	v_mov_b32_e32 v2, 1
	s_and_saveexec_b32 s5, s4
	s_cbranch_execz .LBB4_520
; %bb.524:                              ;   in Loop: Header=BB4_523 Depth=2
	global_load_dword v2, v[26:27], off offset:20 glc dlc
	s_waitcnt vmcnt(0)
	buffer_gl1_inv
	buffer_gl0_inv
	v_and_b32_e32 v2, 1, v2
	s_branch .LBB4_520
.LBB4_525:                              ;   in Loop: Header=BB4_454 Depth=1
	global_load_dwordx4 v[0:3], v[0:1], off
	s_and_saveexec_b32 s5, s4
	s_cbranch_execz .LBB4_453
; %bb.526:                              ;   in Loop: Header=BB4_454 Depth=1
	s_clause 0x2
	global_load_dwordx2 v[2:3], v7, s[26:27] offset:40
	global_load_dwordx2 v[14:15], v7, s[26:27] offset:24 glc dlc
	global_load_dwordx2 v[12:13], v7, s[26:27]
	s_waitcnt vmcnt(2)
	v_add_co_u32 v6, vcc_lo, v2, 1
	v_add_co_ci_u32_e32 v16, vcc_lo, 0, v3, vcc_lo
	v_add_co_u32 v10, vcc_lo, v6, s18
	v_add_co_ci_u32_e32 v11, vcc_lo, s19, v16, vcc_lo
	v_cmp_eq_u64_e32 vcc_lo, 0, v[10:11]
	v_cndmask_b32_e32 v11, v11, v16, vcc_lo
	v_cndmask_b32_e32 v10, v10, v6, vcc_lo
	v_and_b32_e32 v3, v11, v3
	v_and_b32_e32 v2, v10, v2
	v_mul_lo_u32 v3, v3, 24
	v_mul_hi_u32 v6, v2, 24
	v_mul_lo_u32 v2, v2, 24
	v_add_nc_u32_e32 v3, v6, v3
	s_waitcnt vmcnt(0)
	v_add_co_u32 v2, vcc_lo, v12, v2
	v_mov_b32_e32 v12, v14
	v_add_co_ci_u32_e32 v3, vcc_lo, v13, v3, vcc_lo
	v_mov_b32_e32 v13, v15
	global_store_dwordx2 v[2:3], v[14:15], off
	s_waitcnt_vscnt null, 0x0
	global_atomic_cmpswap_x2 v[12:13], v7, v[10:13], s[26:27] offset:24 glc
	s_waitcnt vmcnt(0)
	v_cmp_ne_u64_e32 vcc_lo, v[12:13], v[14:15]
	s_and_b32 exec_lo, exec_lo, vcc_lo
	s_cbranch_execz .LBB4_453
; %bb.527:                              ;   in Loop: Header=BB4_454 Depth=1
	s_mov_b32 s4, 0
.LBB4_528:                              ;   Parent Loop BB4_454 Depth=1
                                        ; =>  This Inner Loop Header: Depth=2
	s_sleep 1
	global_store_dwordx2 v[2:3], v[12:13], off
	s_waitcnt_vscnt null, 0x0
	global_atomic_cmpswap_x2 v[14:15], v7, v[10:13], s[26:27] offset:24 glc
	s_waitcnt vmcnt(0)
	v_cmp_eq_u64_e32 vcc_lo, v[14:15], v[12:13]
	v_mov_b32_e32 v12, v14
	v_mov_b32_e32 v13, v15
	s_or_b32 s4, vcc_lo, s4
	s_andn2_b32 exec_lo, exec_lo, s4
	s_cbranch_execnz .LBB4_528
	s_branch .LBB4_453
.LBB4_529:
	s_branch .LBB4_558
.LBB4_530:
                                        ; implicit-def: $vgpr0_vgpr1
	s_cbranch_execz .LBB4_558
; %bb.531:
	v_readfirstlane_b32 s4, v50
	v_mov_b32_e32 v7, 0
	v_mov_b32_e32 v8, 0
	v_cmp_eq_u32_e64 s4, s4, v50
	s_and_saveexec_b32 s5, s4
	s_cbranch_execz .LBB4_537
; %bb.532:
	s_waitcnt vmcnt(0)
	v_mov_b32_e32 v0, 0
	s_mov_b32 s6, exec_lo
	global_load_dwordx2 v[9:10], v0, s[26:27] offset:24 glc dlc
	s_waitcnt vmcnt(0)
	buffer_gl1_inv
	buffer_gl0_inv
	s_clause 0x1
	global_load_dwordx2 v[1:2], v0, s[26:27] offset:40
	global_load_dwordx2 v[6:7], v0, s[26:27]
	s_waitcnt vmcnt(1)
	v_and_b32_e32 v2, v2, v10
	v_and_b32_e32 v1, v1, v9
	v_mul_lo_u32 v2, v2, 24
	v_mul_hi_u32 v3, v1, 24
	v_mul_lo_u32 v1, v1, 24
	v_add_nc_u32_e32 v2, v3, v2
	s_waitcnt vmcnt(0)
	v_add_co_u32 v1, vcc_lo, v6, v1
	v_add_co_ci_u32_e32 v2, vcc_lo, v7, v2, vcc_lo
	global_load_dwordx2 v[7:8], v[1:2], off glc dlc
	s_waitcnt vmcnt(0)
	global_atomic_cmpswap_x2 v[7:8], v0, v[7:10], s[26:27] offset:24 glc
	s_waitcnt vmcnt(0)
	buffer_gl1_inv
	buffer_gl0_inv
	v_cmpx_ne_u64_e64 v[7:8], v[9:10]
	s_cbranch_execz .LBB4_536
; %bb.533:
	s_mov_b32 s7, 0
	.p2align	6
.LBB4_534:                              ; =>This Inner Loop Header: Depth=1
	s_sleep 1
	s_clause 0x1
	global_load_dwordx2 v[1:2], v0, s[26:27] offset:40
	global_load_dwordx2 v[11:12], v0, s[26:27]
	v_mov_b32_e32 v10, v8
	v_mov_b32_e32 v9, v7
	s_waitcnt vmcnt(1)
	v_and_b32_e32 v1, v1, v9
	v_and_b32_e32 v2, v2, v10
	s_waitcnt vmcnt(0)
	v_mad_u64_u32 v[6:7], null, v1, 24, v[11:12]
	v_mov_b32_e32 v1, v7
	v_mad_u64_u32 v[1:2], null, v2, 24, v[1:2]
	v_mov_b32_e32 v7, v1
	global_load_dwordx2 v[7:8], v[6:7], off glc dlc
	s_waitcnt vmcnt(0)
	global_atomic_cmpswap_x2 v[7:8], v0, v[7:10], s[26:27] offset:24 glc
	s_waitcnt vmcnt(0)
	buffer_gl1_inv
	buffer_gl0_inv
	v_cmp_eq_u64_e32 vcc_lo, v[7:8], v[9:10]
	s_or_b32 s7, vcc_lo, s7
	s_andn2_b32 exec_lo, exec_lo, s7
	s_cbranch_execnz .LBB4_534
; %bb.535:
	s_or_b32 exec_lo, exec_lo, s7
.LBB4_536:
	s_or_b32 exec_lo, exec_lo, s6
.LBB4_537:
	s_or_b32 exec_lo, exec_lo, s5
	v_mov_b32_e32 v6, 0
	v_readfirstlane_b32 s6, v7
	v_readfirstlane_b32 s7, v8
	s_mov_b32 s5, exec_lo
	s_clause 0x1
	global_load_dwordx2 v[9:10], v6, s[26:27] offset:40
	global_load_dwordx4 v[0:3], v6, s[26:27]
	s_waitcnt vmcnt(1)
	v_readfirstlane_b32 s10, v9
	v_readfirstlane_b32 s11, v10
	s_and_b64 s[10:11], s[6:7], s[10:11]
	s_mul_i32 s16, s11, 24
	s_mul_hi_u32 s17, s10, 24
	s_mul_i32 s18, s10, 24
	s_add_i32 s17, s17, s16
	s_waitcnt vmcnt(0)
	v_add_co_u32 v8, vcc_lo, v0, s18
	v_add_co_ci_u32_e32 v9, vcc_lo, s17, v1, vcc_lo
	s_and_saveexec_b32 s16, s4
	s_cbranch_execz .LBB4_539
; %bb.538:
	v_mov_b32_e32 v10, s5
	v_mov_b32_e32 v11, v6
	;; [unrolled: 1-line block ×4, first 2 shown]
	global_store_dwordx4 v[8:9], v[10:13], off offset:8
.LBB4_539:
	s_or_b32 exec_lo, exec_lo, s16
	s_lshl_b64 s[10:11], s[10:11], 12
	s_mov_b32 s16, 0
	v_add_co_u32 v2, vcc_lo, v2, s10
	v_add_co_ci_u32_e32 v3, vcc_lo, s11, v3, vcc_lo
	s_mov_b32 s17, s16
	v_add_co_u32 v10, vcc_lo, v2, v39
	s_mov_b32 s18, s16
	s_mov_b32 s19, s16
	v_and_or_b32 v4, 0xffffff1f, v4, 32
	v_mov_b32_e32 v7, v6
	v_readfirstlane_b32 s10, v2
	v_readfirstlane_b32 s11, v3
	v_mov_b32_e32 v12, s16
	v_add_co_ci_u32_e32 v11, vcc_lo, 0, v3, vcc_lo
	v_mov_b32_e32 v13, s17
	v_mov_b32_e32 v14, s18
	v_mov_b32_e32 v15, s19
	global_store_dwordx4 v39, v[4:7], s[10:11]
	global_store_dwordx4 v39, v[12:15], s[10:11] offset:16
	global_store_dwordx4 v39, v[12:15], s[10:11] offset:32
	;; [unrolled: 1-line block ×3, first 2 shown]
	s_and_saveexec_b32 s5, s4
	s_cbranch_execz .LBB4_547
; %bb.540:
	v_mov_b32_e32 v6, 0
	v_mov_b32_e32 v12, s6
	;; [unrolled: 1-line block ×3, first 2 shown]
	s_clause 0x1
	global_load_dwordx2 v[14:15], v6, s[26:27] offset:32 glc dlc
	global_load_dwordx2 v[2:3], v6, s[26:27] offset:40
	s_waitcnt vmcnt(0)
	v_readfirstlane_b32 s10, v2
	v_readfirstlane_b32 s11, v3
	s_and_b64 s[10:11], s[10:11], s[6:7]
	s_mul_i32 s11, s11, 24
	s_mul_hi_u32 s16, s10, 24
	s_mul_i32 s10, s10, 24
	s_add_i32 s16, s16, s11
	v_add_co_u32 v4, vcc_lo, v0, s10
	v_add_co_ci_u32_e32 v5, vcc_lo, s16, v1, vcc_lo
	s_mov_b32 s10, exec_lo
	global_store_dwordx2 v[4:5], v[14:15], off
	s_waitcnt_vscnt null, 0x0
	global_atomic_cmpswap_x2 v[2:3], v6, v[12:15], s[26:27] offset:32 glc
	s_waitcnt vmcnt(0)
	v_cmpx_ne_u64_e64 v[2:3], v[14:15]
	s_cbranch_execz .LBB4_543
; %bb.541:
	s_mov_b32 s11, 0
.LBB4_542:                              ; =>This Inner Loop Header: Depth=1
	v_mov_b32_e32 v0, s6
	v_mov_b32_e32 v1, s7
	s_sleep 1
	global_store_dwordx2 v[4:5], v[2:3], off
	s_waitcnt_vscnt null, 0x0
	global_atomic_cmpswap_x2 v[0:1], v6, v[0:3], s[26:27] offset:32 glc
	s_waitcnt vmcnt(0)
	v_cmp_eq_u64_e32 vcc_lo, v[0:1], v[2:3]
	v_mov_b32_e32 v3, v1
	v_mov_b32_e32 v2, v0
	s_or_b32 s11, vcc_lo, s11
	s_andn2_b32 exec_lo, exec_lo, s11
	s_cbranch_execnz .LBB4_542
.LBB4_543:
	s_or_b32 exec_lo, exec_lo, s10
	v_mov_b32_e32 v3, 0
	s_mov_b32 s11, exec_lo
	s_mov_b32 s10, exec_lo
	v_mbcnt_lo_u32_b32 v2, s11, 0
	global_load_dwordx2 v[0:1], v3, s[26:27] offset:16
	v_cmpx_eq_u32_e32 0, v2
	s_cbranch_execz .LBB4_545
; %bb.544:
	s_bcnt1_i32_b32 s11, s11
	v_mov_b32_e32 v2, s11
	s_waitcnt vmcnt(0)
	global_atomic_add_x2 v[0:1], v[2:3], off offset:8
.LBB4_545:
	s_or_b32 exec_lo, exec_lo, s10
	s_waitcnt vmcnt(0)
	global_load_dwordx2 v[2:3], v[0:1], off offset:16
	s_waitcnt vmcnt(0)
	v_cmp_eq_u64_e32 vcc_lo, 0, v[2:3]
	s_cbranch_vccnz .LBB4_547
; %bb.546:
	global_load_dword v0, v[0:1], off offset:24
	v_mov_b32_e32 v1, 0
	s_waitcnt vmcnt(0)
	v_and_b32_e32 v4, 0x7fffff, v0
	s_waitcnt_vscnt null, 0x0
	global_store_dwordx2 v[2:3], v[0:1], off
	v_readfirstlane_b32 m0, v4
	s_sendmsg sendmsg(MSG_INTERRUPT)
.LBB4_547:
	s_or_b32 exec_lo, exec_lo, s5
	s_branch .LBB4_551
	.p2align	6
.LBB4_548:                              ;   in Loop: Header=BB4_551 Depth=1
	s_or_b32 exec_lo, exec_lo, s5
	v_readfirstlane_b32 s5, v0
	s_cmp_eq_u32 s5, 0
	s_cbranch_scc1 .LBB4_550
; %bb.549:                              ;   in Loop: Header=BB4_551 Depth=1
	s_sleep 1
	s_cbranch_execnz .LBB4_551
	s_branch .LBB4_553
	.p2align	6
.LBB4_550:
	s_branch .LBB4_553
.LBB4_551:                              ; =>This Inner Loop Header: Depth=1
	v_mov_b32_e32 v0, 1
	s_and_saveexec_b32 s5, s4
	s_cbranch_execz .LBB4_548
; %bb.552:                              ;   in Loop: Header=BB4_551 Depth=1
	global_load_dword v0, v[8:9], off offset:20 glc dlc
	s_waitcnt vmcnt(0)
	buffer_gl1_inv
	buffer_gl0_inv
	v_and_b32_e32 v0, 1, v0
	s_branch .LBB4_548
.LBB4_553:
	global_load_dwordx2 v[0:1], v[10:11], off
	s_and_saveexec_b32 s5, s4
	s_cbranch_execz .LBB4_557
; %bb.554:
	v_mov_b32_e32 v8, 0
	s_clause 0x2
	global_load_dwordx2 v[4:5], v8, s[26:27] offset:40
	global_load_dwordx2 v[9:10], v8, s[26:27] offset:24 glc dlc
	global_load_dwordx2 v[6:7], v8, s[26:27]
	s_waitcnt vmcnt(2)
	v_add_co_u32 v11, vcc_lo, v4, 1
	v_add_co_ci_u32_e32 v12, vcc_lo, 0, v5, vcc_lo
	v_add_co_u32 v2, vcc_lo, v11, s6
	v_add_co_ci_u32_e32 v3, vcc_lo, s7, v12, vcc_lo
	v_cmp_eq_u64_e32 vcc_lo, 0, v[2:3]
	v_cndmask_b32_e32 v3, v3, v12, vcc_lo
	v_cndmask_b32_e32 v2, v2, v11, vcc_lo
	v_and_b32_e32 v5, v3, v5
	v_and_b32_e32 v4, v2, v4
	v_mul_lo_u32 v5, v5, 24
	v_mul_hi_u32 v11, v4, 24
	v_mul_lo_u32 v4, v4, 24
	v_add_nc_u32_e32 v5, v11, v5
	s_waitcnt vmcnt(0)
	v_add_co_u32 v6, vcc_lo, v6, v4
	v_mov_b32_e32 v4, v9
	v_add_co_ci_u32_e32 v7, vcc_lo, v7, v5, vcc_lo
	v_mov_b32_e32 v5, v10
	global_store_dwordx2 v[6:7], v[9:10], off
	s_waitcnt_vscnt null, 0x0
	global_atomic_cmpswap_x2 v[4:5], v8, v[2:5], s[26:27] offset:24 glc
	s_waitcnt vmcnt(0)
	v_cmp_ne_u64_e32 vcc_lo, v[4:5], v[9:10]
	s_and_b32 exec_lo, exec_lo, vcc_lo
	s_cbranch_execz .LBB4_557
; %bb.555:
	s_mov_b32 s4, 0
.LBB4_556:                              ; =>This Inner Loop Header: Depth=1
	s_sleep 1
	global_store_dwordx2 v[6:7], v[4:5], off
	s_waitcnt_vscnt null, 0x0
	global_atomic_cmpswap_x2 v[9:10], v8, v[2:5], s[26:27] offset:24 glc
	s_waitcnt vmcnt(0)
	v_cmp_eq_u64_e32 vcc_lo, v[9:10], v[4:5]
	v_mov_b32_e32 v4, v9
	v_mov_b32_e32 v5, v10
	s_or_b32 s4, vcc_lo, s4
	s_andn2_b32 exec_lo, exec_lo, s4
	s_cbranch_execnz .LBB4_556
.LBB4_557:
	s_or_b32 exec_lo, exec_lo, s5
.LBB4_558:
	s_getpc_b64 s[6:7]
	s_add_u32 s6, s6, .str.1@rel32@lo+4
	s_addc_u32 s7, s7, .str.1@rel32@hi+12
	s_cmp_lg_u64 s[6:7], 0
	s_cbranch_scc0 .LBB4_637
; %bb.559:
	s_waitcnt vmcnt(0)
	v_and_b32_e32 v6, -3, v0
	v_mov_b32_e32 v7, v1
	v_mov_b32_e32 v3, 0
	;; [unrolled: 1-line block ×4, first 2 shown]
	s_mov_b64 s[10:11], 0x53
	s_branch .LBB4_561
.LBB4_560:                              ;   in Loop: Header=BB4_561 Depth=1
	s_or_b32 exec_lo, exec_lo, s5
	s_sub_u32 s10, s10, s16
	s_subb_u32 s11, s11, s17
	s_add_u32 s6, s6, s16
	s_addc_u32 s7, s7, s17
	s_cmp_lg_u64 s[10:11], 0
	s_cbranch_scc0 .LBB4_636
.LBB4_561:                              ; =>This Loop Header: Depth=1
                                        ;     Child Loop BB4_570 Depth 2
                                        ;     Child Loop BB4_566 Depth 2
	;; [unrolled: 1-line block ×11, first 2 shown]
	v_cmp_lt_u64_e64 s4, s[10:11], 56
	v_cmp_gt_u64_e64 s5, s[10:11], 7
                                        ; implicit-def: $sgpr22
	s_and_b32 s4, s4, exec_lo
	s_cselect_b32 s17, s11, 0
	s_cselect_b32 s16, s10, 56
	s_and_b32 vcc_lo, exec_lo, s5
	s_mov_b32 s4, -1
	s_cbranch_vccz .LBB4_568
; %bb.562:                              ;   in Loop: Header=BB4_561 Depth=1
	s_andn2_b32 vcc_lo, exec_lo, s4
	s_mov_b64 s[4:5], s[6:7]
	s_cbranch_vccz .LBB4_572
.LBB4_563:                              ;   in Loop: Header=BB4_561 Depth=1
	s_cmp_gt_u32 s22, 7
	s_cbranch_scc1 .LBB4_573
.LBB4_564:                              ;   in Loop: Header=BB4_561 Depth=1
	v_mov_b32_e32 v10, 0
	v_mov_b32_e32 v11, 0
	s_cmp_eq_u32 s22, 0
	s_cbranch_scc1 .LBB4_567
; %bb.565:                              ;   in Loop: Header=BB4_561 Depth=1
	s_mov_b64 s[18:19], 0
	s_mov_b64 s[20:21], 0
.LBB4_566:                              ;   Parent Loop BB4_561 Depth=1
                                        ; =>  This Inner Loop Header: Depth=2
	s_add_u32 s24, s4, s20
	s_addc_u32 s25, s5, s21
	s_add_u32 s20, s20, 1
	global_load_ubyte v2, v3, s[24:25]
	s_addc_u32 s21, s21, 0
	s_waitcnt vmcnt(0)
	v_and_b32_e32 v2, 0xffff, v2
	v_lshlrev_b64 v[12:13], s18, v[2:3]
	s_add_u32 s18, s18, 8
	s_addc_u32 s19, s19, 0
	s_cmp_lg_u32 s22, s20
	v_or_b32_e32 v10, v12, v10
	v_or_b32_e32 v11, v13, v11
	s_cbranch_scc1 .LBB4_566
.LBB4_567:                              ;   in Loop: Header=BB4_561 Depth=1
	s_mov_b32 s23, 0
	s_cbranch_execz .LBB4_574
	s_branch .LBB4_575
.LBB4_568:                              ;   in Loop: Header=BB4_561 Depth=1
	s_waitcnt vmcnt(0)
	v_mov_b32_e32 v8, 0
	v_mov_b32_e32 v9, 0
	s_cmp_eq_u64 s[10:11], 0
	s_mov_b64 s[4:5], 0
	s_cbranch_scc1 .LBB4_571
; %bb.569:                              ;   in Loop: Header=BB4_561 Depth=1
	v_mov_b32_e32 v8, 0
	v_mov_b32_e32 v9, 0
	s_lshl_b64 s[18:19], s[16:17], 3
	s_mov_b64 s[20:21], s[6:7]
.LBB4_570:                              ;   Parent Loop BB4_561 Depth=1
                                        ; =>  This Inner Loop Header: Depth=2
	global_load_ubyte v2, v3, s[20:21]
	s_waitcnt vmcnt(0)
	v_and_b32_e32 v2, 0xffff, v2
	v_lshlrev_b64 v[10:11], s4, v[2:3]
	s_add_u32 s4, s4, 8
	s_addc_u32 s5, s5, 0
	s_add_u32 s20, s20, 1
	s_addc_u32 s21, s21, 0
	s_cmp_lg_u32 s18, s4
	v_or_b32_e32 v8, v10, v8
	v_or_b32_e32 v9, v11, v9
	s_cbranch_scc1 .LBB4_570
.LBB4_571:                              ;   in Loop: Header=BB4_561 Depth=1
	s_mov_b32 s22, 0
	s_mov_b64 s[4:5], s[6:7]
	s_cbranch_execnz .LBB4_563
.LBB4_572:                              ;   in Loop: Header=BB4_561 Depth=1
	global_load_dwordx2 v[8:9], v3, s[6:7]
	s_add_i32 s22, s16, -8
	s_add_u32 s4, s6, 8
	s_addc_u32 s5, s7, 0
	s_cmp_gt_u32 s22, 7
	s_cbranch_scc0 .LBB4_564
.LBB4_573:                              ;   in Loop: Header=BB4_561 Depth=1
                                        ; implicit-def: $vgpr10_vgpr11
                                        ; implicit-def: $sgpr23
.LBB4_574:                              ;   in Loop: Header=BB4_561 Depth=1
	global_load_dwordx2 v[10:11], v3, s[4:5]
	s_add_i32 s23, s22, -8
	s_add_u32 s4, s4, 8
	s_addc_u32 s5, s5, 0
.LBB4_575:                              ;   in Loop: Header=BB4_561 Depth=1
	s_cmp_gt_u32 s23, 7
	s_cbranch_scc1 .LBB4_580
; %bb.576:                              ;   in Loop: Header=BB4_561 Depth=1
	v_mov_b32_e32 v12, 0
	v_mov_b32_e32 v13, 0
	s_cmp_eq_u32 s23, 0
	s_cbranch_scc1 .LBB4_579
; %bb.577:                              ;   in Loop: Header=BB4_561 Depth=1
	s_mov_b64 s[18:19], 0
	s_mov_b64 s[20:21], 0
.LBB4_578:                              ;   Parent Loop BB4_561 Depth=1
                                        ; =>  This Inner Loop Header: Depth=2
	s_add_u32 s24, s4, s20
	s_addc_u32 s25, s5, s21
	s_add_u32 s20, s20, 1
	global_load_ubyte v2, v3, s[24:25]
	s_addc_u32 s21, s21, 0
	s_waitcnt vmcnt(0)
	v_and_b32_e32 v2, 0xffff, v2
	v_lshlrev_b64 v[14:15], s18, v[2:3]
	s_add_u32 s18, s18, 8
	s_addc_u32 s19, s19, 0
	s_cmp_lg_u32 s23, s20
	v_or_b32_e32 v12, v14, v12
	v_or_b32_e32 v13, v15, v13
	s_cbranch_scc1 .LBB4_578
.LBB4_579:                              ;   in Loop: Header=BB4_561 Depth=1
	s_mov_b32 s22, 0
	s_cbranch_execz .LBB4_581
	s_branch .LBB4_582
.LBB4_580:                              ;   in Loop: Header=BB4_561 Depth=1
                                        ; implicit-def: $sgpr22
.LBB4_581:                              ;   in Loop: Header=BB4_561 Depth=1
	global_load_dwordx2 v[12:13], v3, s[4:5]
	s_add_i32 s22, s23, -8
	s_add_u32 s4, s4, 8
	s_addc_u32 s5, s5, 0
.LBB4_582:                              ;   in Loop: Header=BB4_561 Depth=1
	s_cmp_gt_u32 s22, 7
	s_cbranch_scc1 .LBB4_587
; %bb.583:                              ;   in Loop: Header=BB4_561 Depth=1
	v_mov_b32_e32 v14, 0
	v_mov_b32_e32 v15, 0
	s_cmp_eq_u32 s22, 0
	s_cbranch_scc1 .LBB4_586
; %bb.584:                              ;   in Loop: Header=BB4_561 Depth=1
	s_mov_b64 s[18:19], 0
	s_mov_b64 s[20:21], 0
.LBB4_585:                              ;   Parent Loop BB4_561 Depth=1
                                        ; =>  This Inner Loop Header: Depth=2
	s_add_u32 s24, s4, s20
	s_addc_u32 s25, s5, s21
	s_add_u32 s20, s20, 1
	global_load_ubyte v2, v3, s[24:25]
	s_addc_u32 s21, s21, 0
	s_waitcnt vmcnt(0)
	v_and_b32_e32 v2, 0xffff, v2
	v_lshlrev_b64 v[16:17], s18, v[2:3]
	s_add_u32 s18, s18, 8
	s_addc_u32 s19, s19, 0
	s_cmp_lg_u32 s22, s20
	v_or_b32_e32 v14, v16, v14
	v_or_b32_e32 v15, v17, v15
	s_cbranch_scc1 .LBB4_585
.LBB4_586:                              ;   in Loop: Header=BB4_561 Depth=1
	s_mov_b32 s23, 0
	s_cbranch_execz .LBB4_588
	s_branch .LBB4_589
.LBB4_587:                              ;   in Loop: Header=BB4_561 Depth=1
                                        ; implicit-def: $vgpr14_vgpr15
                                        ; implicit-def: $sgpr23
.LBB4_588:                              ;   in Loop: Header=BB4_561 Depth=1
	global_load_dwordx2 v[14:15], v3, s[4:5]
	s_add_i32 s23, s22, -8
	s_add_u32 s4, s4, 8
	s_addc_u32 s5, s5, 0
.LBB4_589:                              ;   in Loop: Header=BB4_561 Depth=1
	s_cmp_gt_u32 s23, 7
	s_cbranch_scc1 .LBB4_594
; %bb.590:                              ;   in Loop: Header=BB4_561 Depth=1
	v_mov_b32_e32 v16, 0
	v_mov_b32_e32 v17, 0
	s_cmp_eq_u32 s23, 0
	s_cbranch_scc1 .LBB4_593
; %bb.591:                              ;   in Loop: Header=BB4_561 Depth=1
	s_mov_b64 s[18:19], 0
	s_mov_b64 s[20:21], 0
.LBB4_592:                              ;   Parent Loop BB4_561 Depth=1
                                        ; =>  This Inner Loop Header: Depth=2
	s_add_u32 s24, s4, s20
	s_addc_u32 s25, s5, s21
	s_add_u32 s20, s20, 1
	global_load_ubyte v2, v3, s[24:25]
	s_addc_u32 s21, s21, 0
	s_waitcnt vmcnt(0)
	v_and_b32_e32 v2, 0xffff, v2
	v_lshlrev_b64 v[18:19], s18, v[2:3]
	s_add_u32 s18, s18, 8
	s_addc_u32 s19, s19, 0
	s_cmp_lg_u32 s23, s20
	v_or_b32_e32 v16, v18, v16
	v_or_b32_e32 v17, v19, v17
	s_cbranch_scc1 .LBB4_592
.LBB4_593:                              ;   in Loop: Header=BB4_561 Depth=1
	s_mov_b32 s22, 0
	s_cbranch_execz .LBB4_595
	s_branch .LBB4_596
.LBB4_594:                              ;   in Loop: Header=BB4_561 Depth=1
                                        ; implicit-def: $sgpr22
.LBB4_595:                              ;   in Loop: Header=BB4_561 Depth=1
	global_load_dwordx2 v[16:17], v3, s[4:5]
	s_add_i32 s22, s23, -8
	s_add_u32 s4, s4, 8
	s_addc_u32 s5, s5, 0
.LBB4_596:                              ;   in Loop: Header=BB4_561 Depth=1
	s_cmp_gt_u32 s22, 7
	s_cbranch_scc1 .LBB4_601
; %bb.597:                              ;   in Loop: Header=BB4_561 Depth=1
	v_mov_b32_e32 v18, 0
	v_mov_b32_e32 v19, 0
	s_cmp_eq_u32 s22, 0
	s_cbranch_scc1 .LBB4_600
; %bb.598:                              ;   in Loop: Header=BB4_561 Depth=1
	s_mov_b64 s[18:19], 0
	s_mov_b64 s[20:21], 0
.LBB4_599:                              ;   Parent Loop BB4_561 Depth=1
                                        ; =>  This Inner Loop Header: Depth=2
	s_add_u32 s24, s4, s20
	s_addc_u32 s25, s5, s21
	s_add_u32 s20, s20, 1
	global_load_ubyte v2, v3, s[24:25]
	s_addc_u32 s21, s21, 0
	s_waitcnt vmcnt(0)
	v_and_b32_e32 v2, 0xffff, v2
	v_lshlrev_b64 v[20:21], s18, v[2:3]
	s_add_u32 s18, s18, 8
	s_addc_u32 s19, s19, 0
	s_cmp_lg_u32 s22, s20
	v_or_b32_e32 v18, v20, v18
	v_or_b32_e32 v19, v21, v19
	s_cbranch_scc1 .LBB4_599
.LBB4_600:                              ;   in Loop: Header=BB4_561 Depth=1
	s_mov_b32 s23, 0
	s_cbranch_execz .LBB4_602
	s_branch .LBB4_603
.LBB4_601:                              ;   in Loop: Header=BB4_561 Depth=1
                                        ; implicit-def: $vgpr18_vgpr19
                                        ; implicit-def: $sgpr23
.LBB4_602:                              ;   in Loop: Header=BB4_561 Depth=1
	global_load_dwordx2 v[18:19], v3, s[4:5]
	s_add_i32 s23, s22, -8
	s_add_u32 s4, s4, 8
	s_addc_u32 s5, s5, 0
.LBB4_603:                              ;   in Loop: Header=BB4_561 Depth=1
	s_cmp_gt_u32 s23, 7
	s_cbranch_scc1 .LBB4_608
; %bb.604:                              ;   in Loop: Header=BB4_561 Depth=1
	v_mov_b32_e32 v20, 0
	v_mov_b32_e32 v21, 0
	s_cmp_eq_u32 s23, 0
	s_cbranch_scc1 .LBB4_607
; %bb.605:                              ;   in Loop: Header=BB4_561 Depth=1
	s_mov_b64 s[18:19], 0
	s_mov_b64 s[20:21], s[4:5]
.LBB4_606:                              ;   Parent Loop BB4_561 Depth=1
                                        ; =>  This Inner Loop Header: Depth=2
	global_load_ubyte v2, v3, s[20:21]
	s_add_i32 s23, s23, -1
	s_waitcnt vmcnt(0)
	v_and_b32_e32 v2, 0xffff, v2
	v_lshlrev_b64 v[22:23], s18, v[2:3]
	s_add_u32 s18, s18, 8
	s_addc_u32 s19, s19, 0
	s_add_u32 s20, s20, 1
	s_addc_u32 s21, s21, 0
	s_cmp_lg_u32 s23, 0
	v_or_b32_e32 v20, v22, v20
	v_or_b32_e32 v21, v23, v21
	s_cbranch_scc1 .LBB4_606
.LBB4_607:                              ;   in Loop: Header=BB4_561 Depth=1
	s_cbranch_execz .LBB4_609
	s_branch .LBB4_610
.LBB4_608:                              ;   in Loop: Header=BB4_561 Depth=1
.LBB4_609:                              ;   in Loop: Header=BB4_561 Depth=1
	global_load_dwordx2 v[20:21], v3, s[4:5]
.LBB4_610:                              ;   in Loop: Header=BB4_561 Depth=1
	v_readfirstlane_b32 s4, v50
	v_mov_b32_e32 v26, 0
	v_mov_b32_e32 v27, 0
	v_cmp_eq_u32_e64 s4, s4, v50
	s_and_saveexec_b32 s5, s4
	s_cbranch_execz .LBB4_616
; %bb.611:                              ;   in Loop: Header=BB4_561 Depth=1
	global_load_dwordx2 v[24:25], v3, s[26:27] offset:24 glc dlc
	s_waitcnt vmcnt(0)
	buffer_gl1_inv
	buffer_gl0_inv
	s_clause 0x1
	global_load_dwordx2 v[22:23], v3, s[26:27] offset:40
	global_load_dwordx2 v[26:27], v3, s[26:27]
	s_mov_b32 s18, exec_lo
	s_waitcnt vmcnt(1)
	v_and_b32_e32 v2, v23, v25
	v_and_b32_e32 v22, v22, v24
	v_mul_lo_u32 v2, v2, 24
	v_mul_hi_u32 v23, v22, 24
	v_mul_lo_u32 v22, v22, 24
	v_add_nc_u32_e32 v2, v23, v2
	s_waitcnt vmcnt(0)
	v_add_co_u32 v22, vcc_lo, v26, v22
	v_add_co_ci_u32_e32 v23, vcc_lo, v27, v2, vcc_lo
	global_load_dwordx2 v[22:23], v[22:23], off glc dlc
	s_waitcnt vmcnt(0)
	global_atomic_cmpswap_x2 v[26:27], v3, v[22:25], s[26:27] offset:24 glc
	s_waitcnt vmcnt(0)
	buffer_gl1_inv
	buffer_gl0_inv
	v_cmpx_ne_u64_e64 v[26:27], v[24:25]
	s_cbranch_execz .LBB4_615
; %bb.612:                              ;   in Loop: Header=BB4_561 Depth=1
	s_mov_b32 s19, 0
	.p2align	6
.LBB4_613:                              ;   Parent Loop BB4_561 Depth=1
                                        ; =>  This Inner Loop Header: Depth=2
	s_sleep 1
	s_clause 0x1
	global_load_dwordx2 v[22:23], v3, s[26:27] offset:40
	global_load_dwordx2 v[28:29], v3, s[26:27]
	v_mov_b32_e32 v24, v26
	v_mov_b32_e32 v25, v27
	s_waitcnt vmcnt(1)
	v_and_b32_e32 v2, v22, v24
	v_and_b32_e32 v22, v23, v25
	s_waitcnt vmcnt(0)
	v_mad_u64_u32 v[26:27], null, v2, 24, v[28:29]
	v_mov_b32_e32 v2, v27
	v_mad_u64_u32 v[22:23], null, v22, 24, v[2:3]
	v_mov_b32_e32 v27, v22
	global_load_dwordx2 v[22:23], v[26:27], off glc dlc
	s_waitcnt vmcnt(0)
	global_atomic_cmpswap_x2 v[26:27], v3, v[22:25], s[26:27] offset:24 glc
	s_waitcnt vmcnt(0)
	buffer_gl1_inv
	buffer_gl0_inv
	v_cmp_eq_u64_e32 vcc_lo, v[26:27], v[24:25]
	s_or_b32 s19, vcc_lo, s19
	s_andn2_b32 exec_lo, exec_lo, s19
	s_cbranch_execnz .LBB4_613
; %bb.614:                              ;   in Loop: Header=BB4_561 Depth=1
	s_or_b32 exec_lo, exec_lo, s19
.LBB4_615:                              ;   in Loop: Header=BB4_561 Depth=1
	s_or_b32 exec_lo, exec_lo, s18
.LBB4_616:                              ;   in Loop: Header=BB4_561 Depth=1
	s_or_b32 exec_lo, exec_lo, s5
	s_clause 0x1
	global_load_dwordx2 v[28:29], v3, s[26:27] offset:40
	global_load_dwordx4 v[22:25], v3, s[26:27]
	v_readfirstlane_b32 s18, v26
	v_readfirstlane_b32 s19, v27
	s_mov_b32 s5, exec_lo
	s_waitcnt vmcnt(1)
	v_readfirstlane_b32 s20, v28
	v_readfirstlane_b32 s21, v29
	s_and_b64 s[20:21], s[18:19], s[20:21]
	s_mul_i32 s22, s21, 24
	s_mul_hi_u32 s23, s20, 24
	s_mul_i32 s24, s20, 24
	s_add_i32 s23, s23, s22
	s_waitcnt vmcnt(0)
	v_add_co_u32 v26, vcc_lo, v22, s24
	v_add_co_ci_u32_e32 v27, vcc_lo, s23, v23, vcc_lo
	s_and_saveexec_b32 s22, s4
	s_cbranch_execz .LBB4_618
; %bb.617:                              ;   in Loop: Header=BB4_561 Depth=1
	v_mov_b32_e32 v2, s5
	global_store_dwordx4 v[26:27], v[2:5], off offset:8
.LBB4_618:                              ;   in Loop: Header=BB4_561 Depth=1
	s_or_b32 exec_lo, exec_lo, s22
	s_lshl_b64 s[20:21], s[20:21], 12
	v_or_b32_e32 v2, 2, v6
	v_add_co_u32 v24, vcc_lo, v24, s20
	v_add_co_ci_u32_e32 v25, vcc_lo, s21, v25, vcc_lo
	v_cmp_gt_u64_e64 vcc_lo, s[10:11], 56
	s_lshl_b32 s5, s16, 2
	v_readfirstlane_b32 s20, v24
	s_add_i32 s5, s5, 28
	v_readfirstlane_b32 s21, v25
	s_and_b32 s5, s5, 0x1e0
	v_cndmask_b32_e32 v2, v2, v6, vcc_lo
	v_and_or_b32 v6, 0xffffff1f, v2, s5
	global_store_dwordx4 v39, v[10:13], s[20:21] offset:16
	global_store_dwordx4 v39, v[6:9], s[20:21]
	global_store_dwordx4 v39, v[14:17], s[20:21] offset:32
	global_store_dwordx4 v39, v[18:21], s[20:21] offset:48
	s_and_saveexec_b32 s5, s4
	s_cbranch_execz .LBB4_626
; %bb.619:                              ;   in Loop: Header=BB4_561 Depth=1
	s_clause 0x1
	global_load_dwordx2 v[14:15], v3, s[26:27] offset:32 glc dlc
	global_load_dwordx2 v[6:7], v3, s[26:27] offset:40
	v_mov_b32_e32 v12, s18
	v_mov_b32_e32 v13, s19
	s_waitcnt vmcnt(0)
	v_readfirstlane_b32 s20, v6
	v_readfirstlane_b32 s21, v7
	s_and_b64 s[20:21], s[20:21], s[18:19]
	s_mul_i32 s21, s21, 24
	s_mul_hi_u32 s22, s20, 24
	s_mul_i32 s20, s20, 24
	s_add_i32 s22, s22, s21
	v_add_co_u32 v10, vcc_lo, v22, s20
	v_add_co_ci_u32_e32 v11, vcc_lo, s22, v23, vcc_lo
	s_mov_b32 s20, exec_lo
	global_store_dwordx2 v[10:11], v[14:15], off
	s_waitcnt_vscnt null, 0x0
	global_atomic_cmpswap_x2 v[8:9], v3, v[12:15], s[26:27] offset:32 glc
	s_waitcnt vmcnt(0)
	v_cmpx_ne_u64_e64 v[8:9], v[14:15]
	s_cbranch_execz .LBB4_622
; %bb.620:                              ;   in Loop: Header=BB4_561 Depth=1
	s_mov_b32 s21, 0
.LBB4_621:                              ;   Parent Loop BB4_561 Depth=1
                                        ; =>  This Inner Loop Header: Depth=2
	v_mov_b32_e32 v6, s18
	v_mov_b32_e32 v7, s19
	s_sleep 1
	global_store_dwordx2 v[10:11], v[8:9], off
	s_waitcnt_vscnt null, 0x0
	global_atomic_cmpswap_x2 v[6:7], v3, v[6:9], s[26:27] offset:32 glc
	s_waitcnt vmcnt(0)
	v_cmp_eq_u64_e32 vcc_lo, v[6:7], v[8:9]
	v_mov_b32_e32 v9, v7
	v_mov_b32_e32 v8, v6
	s_or_b32 s21, vcc_lo, s21
	s_andn2_b32 exec_lo, exec_lo, s21
	s_cbranch_execnz .LBB4_621
.LBB4_622:                              ;   in Loop: Header=BB4_561 Depth=1
	s_or_b32 exec_lo, exec_lo, s20
	global_load_dwordx2 v[6:7], v3, s[26:27] offset:16
	s_mov_b32 s21, exec_lo
	s_mov_b32 s20, exec_lo
	v_mbcnt_lo_u32_b32 v2, s21, 0
	v_cmpx_eq_u32_e32 0, v2
	s_cbranch_execz .LBB4_624
; %bb.623:                              ;   in Loop: Header=BB4_561 Depth=1
	s_bcnt1_i32_b32 s21, s21
	v_mov_b32_e32 v2, s21
	s_waitcnt vmcnt(0)
	global_atomic_add_x2 v[6:7], v[2:3], off offset:8
.LBB4_624:                              ;   in Loop: Header=BB4_561 Depth=1
	s_or_b32 exec_lo, exec_lo, s20
	s_waitcnt vmcnt(0)
	global_load_dwordx2 v[8:9], v[6:7], off offset:16
	s_waitcnt vmcnt(0)
	v_cmp_eq_u64_e32 vcc_lo, 0, v[8:9]
	s_cbranch_vccnz .LBB4_626
; %bb.625:                              ;   in Loop: Header=BB4_561 Depth=1
	global_load_dword v2, v[6:7], off offset:24
	s_waitcnt vmcnt(0)
	v_and_b32_e32 v6, 0x7fffff, v2
	s_waitcnt_vscnt null, 0x0
	global_store_dwordx2 v[8:9], v[2:3], off
	v_readfirstlane_b32 m0, v6
	s_sendmsg sendmsg(MSG_INTERRUPT)
.LBB4_626:                              ;   in Loop: Header=BB4_561 Depth=1
	s_or_b32 exec_lo, exec_lo, s5
	v_add_co_u32 v6, vcc_lo, v24, v39
	v_add_co_ci_u32_e32 v7, vcc_lo, 0, v25, vcc_lo
	s_branch .LBB4_630
	.p2align	6
.LBB4_627:                              ;   in Loop: Header=BB4_630 Depth=2
	s_or_b32 exec_lo, exec_lo, s5
	v_readfirstlane_b32 s5, v2
	s_cmp_eq_u32 s5, 0
	s_cbranch_scc1 .LBB4_629
; %bb.628:                              ;   in Loop: Header=BB4_630 Depth=2
	s_sleep 1
	s_cbranch_execnz .LBB4_630
	s_branch .LBB4_632
	.p2align	6
.LBB4_629:                              ;   in Loop: Header=BB4_561 Depth=1
	s_branch .LBB4_632
.LBB4_630:                              ;   Parent Loop BB4_561 Depth=1
                                        ; =>  This Inner Loop Header: Depth=2
	v_mov_b32_e32 v2, 1
	s_and_saveexec_b32 s5, s4
	s_cbranch_execz .LBB4_627
; %bb.631:                              ;   in Loop: Header=BB4_630 Depth=2
	global_load_dword v2, v[26:27], off offset:20 glc dlc
	s_waitcnt vmcnt(0)
	buffer_gl1_inv
	buffer_gl0_inv
	v_and_b32_e32 v2, 1, v2
	s_branch .LBB4_627
.LBB4_632:                              ;   in Loop: Header=BB4_561 Depth=1
	global_load_dwordx4 v[6:9], v[6:7], off
	s_and_saveexec_b32 s5, s4
	s_cbranch_execz .LBB4_560
; %bb.633:                              ;   in Loop: Header=BB4_561 Depth=1
	s_clause 0x2
	global_load_dwordx2 v[10:11], v3, s[26:27] offset:40
	global_load_dwordx2 v[14:15], v3, s[26:27] offset:24 glc dlc
	global_load_dwordx2 v[12:13], v3, s[26:27]
	s_waitcnt vmcnt(2)
	v_add_co_u32 v2, vcc_lo, v10, 1
	v_add_co_ci_u32_e32 v16, vcc_lo, 0, v11, vcc_lo
	v_add_co_u32 v8, vcc_lo, v2, s18
	v_add_co_ci_u32_e32 v9, vcc_lo, s19, v16, vcc_lo
	v_cmp_eq_u64_e32 vcc_lo, 0, v[8:9]
	v_cndmask_b32_e32 v9, v9, v16, vcc_lo
	v_cndmask_b32_e32 v8, v8, v2, vcc_lo
	v_and_b32_e32 v2, v9, v11
	v_and_b32_e32 v10, v8, v10
	v_mul_lo_u32 v2, v2, 24
	v_mul_hi_u32 v11, v10, 24
	v_mul_lo_u32 v10, v10, 24
	v_add_nc_u32_e32 v2, v11, v2
	s_waitcnt vmcnt(0)
	v_add_co_u32 v12, vcc_lo, v12, v10
	v_mov_b32_e32 v10, v14
	v_mov_b32_e32 v11, v15
	v_add_co_ci_u32_e32 v13, vcc_lo, v13, v2, vcc_lo
	global_store_dwordx2 v[12:13], v[14:15], off
	s_waitcnt_vscnt null, 0x0
	global_atomic_cmpswap_x2 v[10:11], v3, v[8:11], s[26:27] offset:24 glc
	s_waitcnt vmcnt(0)
	v_cmp_ne_u64_e32 vcc_lo, v[10:11], v[14:15]
	s_and_b32 exec_lo, exec_lo, vcc_lo
	s_cbranch_execz .LBB4_560
; %bb.634:                              ;   in Loop: Header=BB4_561 Depth=1
	s_mov_b32 s4, 0
.LBB4_635:                              ;   Parent Loop BB4_561 Depth=1
                                        ; =>  This Inner Loop Header: Depth=2
	s_sleep 1
	global_store_dwordx2 v[12:13], v[10:11], off
	s_waitcnt_vscnt null, 0x0
	global_atomic_cmpswap_x2 v[14:15], v3, v[8:11], s[26:27] offset:24 glc
	s_waitcnt vmcnt(0)
	v_cmp_eq_u64_e32 vcc_lo, v[14:15], v[10:11]
	v_mov_b32_e32 v10, v14
	v_mov_b32_e32 v11, v15
	s_or_b32 s4, vcc_lo, s4
	s_andn2_b32 exec_lo, exec_lo, s4
	s_cbranch_execnz .LBB4_635
	s_branch .LBB4_560
.LBB4_636:
	s_branch .LBB4_665
.LBB4_637:
	s_cbranch_execz .LBB4_665
; %bb.638:
	v_readfirstlane_b32 s4, v50
	s_waitcnt vmcnt(0)
	v_mov_b32_e32 v8, 0
	v_mov_b32_e32 v9, 0
	v_cmp_eq_u32_e64 s4, s4, v50
	s_and_saveexec_b32 s5, s4
	s_cbranch_execz .LBB4_644
; %bb.639:
	v_mov_b32_e32 v2, 0
	s_mov_b32 s6, exec_lo
	global_load_dwordx2 v[5:6], v2, s[26:27] offset:24 glc dlc
	s_waitcnt vmcnt(0)
	buffer_gl1_inv
	buffer_gl0_inv
	s_clause 0x1
	global_load_dwordx2 v[3:4], v2, s[26:27] offset:40
	global_load_dwordx2 v[7:8], v2, s[26:27]
	s_waitcnt vmcnt(1)
	v_and_b32_e32 v4, v4, v6
	v_and_b32_e32 v3, v3, v5
	v_mul_lo_u32 v4, v4, 24
	v_mul_hi_u32 v9, v3, 24
	v_mul_lo_u32 v3, v3, 24
	v_add_nc_u32_e32 v4, v9, v4
	s_waitcnt vmcnt(0)
	v_add_co_u32 v3, vcc_lo, v7, v3
	v_add_co_ci_u32_e32 v4, vcc_lo, v8, v4, vcc_lo
	global_load_dwordx2 v[3:4], v[3:4], off glc dlc
	s_waitcnt vmcnt(0)
	global_atomic_cmpswap_x2 v[8:9], v2, v[3:6], s[26:27] offset:24 glc
	s_waitcnt vmcnt(0)
	buffer_gl1_inv
	buffer_gl0_inv
	v_cmpx_ne_u64_e64 v[8:9], v[5:6]
	s_cbranch_execz .LBB4_643
; %bb.640:
	s_mov_b32 s7, 0
	.p2align	6
.LBB4_641:                              ; =>This Inner Loop Header: Depth=1
	s_sleep 1
	s_clause 0x1
	global_load_dwordx2 v[3:4], v2, s[26:27] offset:40
	global_load_dwordx2 v[10:11], v2, s[26:27]
	v_mov_b32_e32 v5, v8
	v_mov_b32_e32 v6, v9
	s_waitcnt vmcnt(1)
	v_and_b32_e32 v3, v3, v5
	v_and_b32_e32 v4, v4, v6
	s_waitcnt vmcnt(0)
	v_mad_u64_u32 v[7:8], null, v3, 24, v[10:11]
	v_mov_b32_e32 v3, v8
	v_mad_u64_u32 v[3:4], null, v4, 24, v[3:4]
	v_mov_b32_e32 v8, v3
	global_load_dwordx2 v[3:4], v[7:8], off glc dlc
	s_waitcnt vmcnt(0)
	global_atomic_cmpswap_x2 v[8:9], v2, v[3:6], s[26:27] offset:24 glc
	s_waitcnt vmcnt(0)
	buffer_gl1_inv
	buffer_gl0_inv
	v_cmp_eq_u64_e32 vcc_lo, v[8:9], v[5:6]
	s_or_b32 s7, vcc_lo, s7
	s_andn2_b32 exec_lo, exec_lo, s7
	s_cbranch_execnz .LBB4_641
; %bb.642:
	s_or_b32 exec_lo, exec_lo, s7
.LBB4_643:
	s_or_b32 exec_lo, exec_lo, s6
.LBB4_644:
	s_or_b32 exec_lo, exec_lo, s5
	v_mov_b32_e32 v2, 0
	v_readfirstlane_b32 s6, v8
	v_readfirstlane_b32 s7, v9
	s_mov_b32 s5, exec_lo
	s_clause 0x1
	global_load_dwordx2 v[10:11], v2, s[26:27] offset:40
	global_load_dwordx4 v[4:7], v2, s[26:27]
	s_waitcnt vmcnt(1)
	v_readfirstlane_b32 s10, v10
	v_readfirstlane_b32 s11, v11
	s_and_b64 s[10:11], s[6:7], s[10:11]
	s_mul_i32 s16, s11, 24
	s_mul_hi_u32 s17, s10, 24
	s_mul_i32 s18, s10, 24
	s_add_i32 s17, s17, s16
	s_waitcnt vmcnt(0)
	v_add_co_u32 v8, vcc_lo, v4, s18
	v_add_co_ci_u32_e32 v9, vcc_lo, s17, v5, vcc_lo
	s_and_saveexec_b32 s16, s4
	s_cbranch_execz .LBB4_646
; %bb.645:
	v_mov_b32_e32 v10, s5
	v_mov_b32_e32 v11, v2
	;; [unrolled: 1-line block ×4, first 2 shown]
	global_store_dwordx4 v[8:9], v[10:13], off offset:8
.LBB4_646:
	s_or_b32 exec_lo, exec_lo, s16
	s_lshl_b64 s[10:11], s[10:11], 12
	s_mov_b32 s16, 0
	v_add_co_u32 v6, vcc_lo, v6, s10
	v_add_co_ci_u32_e32 v7, vcc_lo, s11, v7, vcc_lo
	s_mov_b32 s17, s16
	s_mov_b32 s18, s16
	;; [unrolled: 1-line block ×3, first 2 shown]
	v_and_or_b32 v0, 0xffffff1d, v0, 34
	v_mov_b32_e32 v3, v2
	v_readfirstlane_b32 s10, v6
	v_readfirstlane_b32 s11, v7
	v_mov_b32_e32 v10, s16
	v_mov_b32_e32 v11, s17
	;; [unrolled: 1-line block ×4, first 2 shown]
	global_store_dwordx4 v39, v[0:3], s[10:11]
	global_store_dwordx4 v39, v[10:13], s[10:11] offset:16
	global_store_dwordx4 v39, v[10:13], s[10:11] offset:32
	;; [unrolled: 1-line block ×3, first 2 shown]
	s_and_saveexec_b32 s5, s4
	s_cbranch_execz .LBB4_654
; %bb.647:
	v_mov_b32_e32 v6, 0
	v_mov_b32_e32 v10, s6
	;; [unrolled: 1-line block ×3, first 2 shown]
	s_clause 0x1
	global_load_dwordx2 v[12:13], v6, s[26:27] offset:32 glc dlc
	global_load_dwordx2 v[0:1], v6, s[26:27] offset:40
	s_waitcnt vmcnt(0)
	v_readfirstlane_b32 s10, v0
	v_readfirstlane_b32 s11, v1
	s_and_b64 s[10:11], s[10:11], s[6:7]
	s_mul_i32 s11, s11, 24
	s_mul_hi_u32 s16, s10, 24
	s_mul_i32 s10, s10, 24
	s_add_i32 s16, s16, s11
	v_add_co_u32 v4, vcc_lo, v4, s10
	v_add_co_ci_u32_e32 v5, vcc_lo, s16, v5, vcc_lo
	s_mov_b32 s10, exec_lo
	global_store_dwordx2 v[4:5], v[12:13], off
	s_waitcnt_vscnt null, 0x0
	global_atomic_cmpswap_x2 v[2:3], v6, v[10:13], s[26:27] offset:32 glc
	s_waitcnt vmcnt(0)
	v_cmpx_ne_u64_e64 v[2:3], v[12:13]
	s_cbranch_execz .LBB4_650
; %bb.648:
	s_mov_b32 s11, 0
.LBB4_649:                              ; =>This Inner Loop Header: Depth=1
	v_mov_b32_e32 v0, s6
	v_mov_b32_e32 v1, s7
	s_sleep 1
	global_store_dwordx2 v[4:5], v[2:3], off
	s_waitcnt_vscnt null, 0x0
	global_atomic_cmpswap_x2 v[0:1], v6, v[0:3], s[26:27] offset:32 glc
	s_waitcnt vmcnt(0)
	v_cmp_eq_u64_e32 vcc_lo, v[0:1], v[2:3]
	v_mov_b32_e32 v3, v1
	v_mov_b32_e32 v2, v0
	s_or_b32 s11, vcc_lo, s11
	s_andn2_b32 exec_lo, exec_lo, s11
	s_cbranch_execnz .LBB4_649
.LBB4_650:
	s_or_b32 exec_lo, exec_lo, s10
	v_mov_b32_e32 v3, 0
	s_mov_b32 s11, exec_lo
	s_mov_b32 s10, exec_lo
	v_mbcnt_lo_u32_b32 v2, s11, 0
	global_load_dwordx2 v[0:1], v3, s[26:27] offset:16
	v_cmpx_eq_u32_e32 0, v2
	s_cbranch_execz .LBB4_652
; %bb.651:
	s_bcnt1_i32_b32 s11, s11
	v_mov_b32_e32 v2, s11
	s_waitcnt vmcnt(0)
	global_atomic_add_x2 v[0:1], v[2:3], off offset:8
.LBB4_652:
	s_or_b32 exec_lo, exec_lo, s10
	s_waitcnt vmcnt(0)
	global_load_dwordx2 v[2:3], v[0:1], off offset:16
	s_waitcnt vmcnt(0)
	v_cmp_eq_u64_e32 vcc_lo, 0, v[2:3]
	s_cbranch_vccnz .LBB4_654
; %bb.653:
	global_load_dword v0, v[0:1], off offset:24
	v_mov_b32_e32 v1, 0
	s_waitcnt vmcnt(0)
	v_and_b32_e32 v4, 0x7fffff, v0
	s_waitcnt_vscnt null, 0x0
	global_store_dwordx2 v[2:3], v[0:1], off
	v_readfirstlane_b32 m0, v4
	s_sendmsg sendmsg(MSG_INTERRUPT)
.LBB4_654:
	s_or_b32 exec_lo, exec_lo, s5
	s_branch .LBB4_658
	.p2align	6
.LBB4_655:                              ;   in Loop: Header=BB4_658 Depth=1
	s_or_b32 exec_lo, exec_lo, s5
	v_readfirstlane_b32 s5, v0
	s_cmp_eq_u32 s5, 0
	s_cbranch_scc1 .LBB4_657
; %bb.656:                              ;   in Loop: Header=BB4_658 Depth=1
	s_sleep 1
	s_cbranch_execnz .LBB4_658
	s_branch .LBB4_660
	.p2align	6
.LBB4_657:
	s_branch .LBB4_660
.LBB4_658:                              ; =>This Inner Loop Header: Depth=1
	v_mov_b32_e32 v0, 1
	s_and_saveexec_b32 s5, s4
	s_cbranch_execz .LBB4_655
; %bb.659:                              ;   in Loop: Header=BB4_658 Depth=1
	global_load_dword v0, v[8:9], off offset:20 glc dlc
	s_waitcnt vmcnt(0)
	buffer_gl1_inv
	buffer_gl0_inv
	v_and_b32_e32 v0, 1, v0
	s_branch .LBB4_655
.LBB4_660:
	s_and_saveexec_b32 s5, s4
	s_cbranch_execz .LBB4_664
; %bb.661:
	v_mov_b32_e32 v6, 0
	s_clause 0x2
	global_load_dwordx2 v[2:3], v6, s[26:27] offset:40
	global_load_dwordx2 v[7:8], v6, s[26:27] offset:24 glc dlc
	global_load_dwordx2 v[4:5], v6, s[26:27]
	s_waitcnt vmcnt(2)
	v_add_co_u32 v9, vcc_lo, v2, 1
	v_add_co_ci_u32_e32 v10, vcc_lo, 0, v3, vcc_lo
	v_add_co_u32 v0, vcc_lo, v9, s6
	v_add_co_ci_u32_e32 v1, vcc_lo, s7, v10, vcc_lo
	v_cmp_eq_u64_e32 vcc_lo, 0, v[0:1]
	v_cndmask_b32_e32 v1, v1, v10, vcc_lo
	v_cndmask_b32_e32 v0, v0, v9, vcc_lo
	v_and_b32_e32 v3, v1, v3
	v_and_b32_e32 v2, v0, v2
	v_mul_lo_u32 v3, v3, 24
	v_mul_hi_u32 v9, v2, 24
	v_mul_lo_u32 v2, v2, 24
	v_add_nc_u32_e32 v3, v9, v3
	s_waitcnt vmcnt(0)
	v_add_co_u32 v4, vcc_lo, v4, v2
	v_mov_b32_e32 v2, v7
	v_add_co_ci_u32_e32 v5, vcc_lo, v5, v3, vcc_lo
	v_mov_b32_e32 v3, v8
	global_store_dwordx2 v[4:5], v[7:8], off
	s_waitcnt_vscnt null, 0x0
	global_atomic_cmpswap_x2 v[2:3], v6, v[0:3], s[26:27] offset:24 glc
	s_waitcnt vmcnt(0)
	v_cmp_ne_u64_e32 vcc_lo, v[2:3], v[7:8]
	s_and_b32 exec_lo, exec_lo, vcc_lo
	s_cbranch_execz .LBB4_664
; %bb.662:
	s_mov_b32 s4, 0
.LBB4_663:                              ; =>This Inner Loop Header: Depth=1
	s_sleep 1
	global_store_dwordx2 v[4:5], v[2:3], off
	s_waitcnt_vscnt null, 0x0
	global_atomic_cmpswap_x2 v[7:8], v6, v[0:3], s[26:27] offset:24 glc
	s_waitcnt vmcnt(0)
	v_cmp_eq_u64_e32 vcc_lo, v[7:8], v[2:3]
	v_mov_b32_e32 v2, v7
	v_mov_b32_e32 v3, v8
	s_or_b32 s4, vcc_lo, s4
	s_andn2_b32 exec_lo, exec_lo, s4
	s_cbranch_execnz .LBB4_663
.LBB4_664:
	s_or_b32 exec_lo, exec_lo, s5
.LBB4_665:
	v_readfirstlane_b32 s4, v50
	s_waitcnt vmcnt(0)
	v_mov_b32_e32 v6, 0
	v_mov_b32_e32 v7, 0
	v_cmp_eq_u32_e64 s4, s4, v50
	s_and_saveexec_b32 s5, s4
	s_cbranch_execz .LBB4_671
; %bb.666:
	v_mov_b32_e32 v0, 0
	s_mov_b32 s6, exec_lo
	global_load_dwordx2 v[3:4], v0, s[26:27] offset:24 glc dlc
	s_waitcnt vmcnt(0)
	buffer_gl1_inv
	buffer_gl0_inv
	s_clause 0x1
	global_load_dwordx2 v[1:2], v0, s[26:27] offset:40
	global_load_dwordx2 v[5:6], v0, s[26:27]
	s_waitcnt vmcnt(1)
	v_and_b32_e32 v2, v2, v4
	v_and_b32_e32 v1, v1, v3
	v_mul_lo_u32 v2, v2, 24
	v_mul_hi_u32 v7, v1, 24
	v_mul_lo_u32 v1, v1, 24
	v_add_nc_u32_e32 v2, v7, v2
	s_waitcnt vmcnt(0)
	v_add_co_u32 v1, vcc_lo, v5, v1
	v_add_co_ci_u32_e32 v2, vcc_lo, v6, v2, vcc_lo
	global_load_dwordx2 v[1:2], v[1:2], off glc dlc
	s_waitcnt vmcnt(0)
	global_atomic_cmpswap_x2 v[6:7], v0, v[1:4], s[26:27] offset:24 glc
	s_waitcnt vmcnt(0)
	buffer_gl1_inv
	buffer_gl0_inv
	v_cmpx_ne_u64_e64 v[6:7], v[3:4]
	s_cbranch_execz .LBB4_670
; %bb.667:
	s_mov_b32 s7, 0
	.p2align	6
.LBB4_668:                              ; =>This Inner Loop Header: Depth=1
	s_sleep 1
	s_clause 0x1
	global_load_dwordx2 v[1:2], v0, s[26:27] offset:40
	global_load_dwordx2 v[8:9], v0, s[26:27]
	v_mov_b32_e32 v3, v6
	v_mov_b32_e32 v4, v7
	s_waitcnt vmcnt(1)
	v_and_b32_e32 v1, v1, v3
	v_and_b32_e32 v2, v2, v4
	s_waitcnt vmcnt(0)
	v_mad_u64_u32 v[5:6], null, v1, 24, v[8:9]
	v_mov_b32_e32 v1, v6
	v_mad_u64_u32 v[1:2], null, v2, 24, v[1:2]
	v_mov_b32_e32 v6, v1
	global_load_dwordx2 v[1:2], v[5:6], off glc dlc
	s_waitcnt vmcnt(0)
	global_atomic_cmpswap_x2 v[6:7], v0, v[1:4], s[26:27] offset:24 glc
	s_waitcnt vmcnt(0)
	buffer_gl1_inv
	buffer_gl0_inv
	v_cmp_eq_u64_e32 vcc_lo, v[6:7], v[3:4]
	s_or_b32 s7, vcc_lo, s7
	s_andn2_b32 exec_lo, exec_lo, s7
	s_cbranch_execnz .LBB4_668
; %bb.669:
	s_or_b32 exec_lo, exec_lo, s7
.LBB4_670:
	s_or_b32 exec_lo, exec_lo, s6
.LBB4_671:
	s_or_b32 exec_lo, exec_lo, s5
	v_mov_b32_e32 v5, 0
	v_readfirstlane_b32 s6, v6
	v_readfirstlane_b32 s7, v7
	s_mov_b32 s5, exec_lo
	s_clause 0x1
	global_load_dwordx2 v[8:9], v5, s[26:27] offset:40
	global_load_dwordx4 v[0:3], v5, s[26:27]
	s_waitcnt vmcnt(1)
	v_readfirstlane_b32 s10, v8
	v_readfirstlane_b32 s11, v9
	s_and_b64 s[10:11], s[6:7], s[10:11]
	s_mul_i32 s16, s11, 24
	s_mul_hi_u32 s17, s10, 24
	s_mul_i32 s18, s10, 24
	s_add_i32 s17, s17, s16
	s_waitcnt vmcnt(0)
	v_add_co_u32 v8, vcc_lo, v0, s18
	v_add_co_ci_u32_e32 v9, vcc_lo, s17, v1, vcc_lo
	s_and_saveexec_b32 s16, s4
	s_cbranch_execz .LBB4_673
; %bb.672:
	v_mov_b32_e32 v4, s5
	v_mov_b32_e32 v6, 2
	;; [unrolled: 1-line block ×3, first 2 shown]
	global_store_dwordx4 v[8:9], v[4:7], off offset:8
.LBB4_673:
	s_or_b32 exec_lo, exec_lo, s16
	s_lshl_b64 s[10:11], s[10:11], 12
	s_mov_b32 s16, 0
	v_add_co_u32 v2, vcc_lo, v2, s10
	v_add_co_ci_u32_e32 v3, vcc_lo, s11, v3, vcc_lo
	s_mov_b32 s17, s16
	v_add_co_u32 v10, vcc_lo, v2, v39
	s_mov_b32 s18, s16
	s_mov_b32 s19, s16
	v_mov_b32_e32 v4, 33
	v_mov_b32_e32 v6, v5
	;; [unrolled: 1-line block ×3, first 2 shown]
	v_readfirstlane_b32 s10, v2
	v_readfirstlane_b32 s11, v3
	v_mov_b32_e32 v12, s16
	v_add_co_ci_u32_e32 v11, vcc_lo, 0, v3, vcc_lo
	v_mov_b32_e32 v13, s17
	v_mov_b32_e32 v14, s18
	;; [unrolled: 1-line block ×3, first 2 shown]
	global_store_dwordx4 v39, v[4:7], s[10:11]
	global_store_dwordx4 v39, v[12:15], s[10:11] offset:16
	global_store_dwordx4 v39, v[12:15], s[10:11] offset:32
	global_store_dwordx4 v39, v[12:15], s[10:11] offset:48
	s_and_saveexec_b32 s5, s4
	s_cbranch_execz .LBB4_681
; %bb.674:
	v_mov_b32_e32 v6, 0
	v_mov_b32_e32 v12, s6
	;; [unrolled: 1-line block ×3, first 2 shown]
	s_clause 0x1
	global_load_dwordx2 v[14:15], v6, s[26:27] offset:32 glc dlc
	global_load_dwordx2 v[2:3], v6, s[26:27] offset:40
	s_waitcnt vmcnt(0)
	v_readfirstlane_b32 s10, v2
	v_readfirstlane_b32 s11, v3
	s_and_b64 s[10:11], s[10:11], s[6:7]
	s_mul_i32 s11, s11, 24
	s_mul_hi_u32 s16, s10, 24
	s_mul_i32 s10, s10, 24
	s_add_i32 s16, s16, s11
	v_add_co_u32 v4, vcc_lo, v0, s10
	v_add_co_ci_u32_e32 v5, vcc_lo, s16, v1, vcc_lo
	s_mov_b32 s10, exec_lo
	global_store_dwordx2 v[4:5], v[14:15], off
	s_waitcnt_vscnt null, 0x0
	global_atomic_cmpswap_x2 v[2:3], v6, v[12:15], s[26:27] offset:32 glc
	s_waitcnt vmcnt(0)
	v_cmpx_ne_u64_e64 v[2:3], v[14:15]
	s_cbranch_execz .LBB4_677
; %bb.675:
	s_mov_b32 s11, 0
.LBB4_676:                              ; =>This Inner Loop Header: Depth=1
	v_mov_b32_e32 v0, s6
	v_mov_b32_e32 v1, s7
	s_sleep 1
	global_store_dwordx2 v[4:5], v[2:3], off
	s_waitcnt_vscnt null, 0x0
	global_atomic_cmpswap_x2 v[0:1], v6, v[0:3], s[26:27] offset:32 glc
	s_waitcnt vmcnt(0)
	v_cmp_eq_u64_e32 vcc_lo, v[0:1], v[2:3]
	v_mov_b32_e32 v3, v1
	v_mov_b32_e32 v2, v0
	s_or_b32 s11, vcc_lo, s11
	s_andn2_b32 exec_lo, exec_lo, s11
	s_cbranch_execnz .LBB4_676
.LBB4_677:
	s_or_b32 exec_lo, exec_lo, s10
	v_mov_b32_e32 v3, 0
	s_mov_b32 s11, exec_lo
	s_mov_b32 s10, exec_lo
	v_mbcnt_lo_u32_b32 v2, s11, 0
	global_load_dwordx2 v[0:1], v3, s[26:27] offset:16
	v_cmpx_eq_u32_e32 0, v2
	s_cbranch_execz .LBB4_679
; %bb.678:
	s_bcnt1_i32_b32 s11, s11
	v_mov_b32_e32 v2, s11
	s_waitcnt vmcnt(0)
	global_atomic_add_x2 v[0:1], v[2:3], off offset:8
.LBB4_679:
	s_or_b32 exec_lo, exec_lo, s10
	s_waitcnt vmcnt(0)
	global_load_dwordx2 v[2:3], v[0:1], off offset:16
	s_waitcnt vmcnt(0)
	v_cmp_eq_u64_e32 vcc_lo, 0, v[2:3]
	s_cbranch_vccnz .LBB4_681
; %bb.680:
	global_load_dword v0, v[0:1], off offset:24
	v_mov_b32_e32 v1, 0
	s_waitcnt vmcnt(0)
	v_and_b32_e32 v4, 0x7fffff, v0
	s_waitcnt_vscnt null, 0x0
	global_store_dwordx2 v[2:3], v[0:1], off
	v_readfirstlane_b32 m0, v4
	s_sendmsg sendmsg(MSG_INTERRUPT)
.LBB4_681:
	s_or_b32 exec_lo, exec_lo, s5
	s_branch .LBB4_685
	.p2align	6
.LBB4_682:                              ;   in Loop: Header=BB4_685 Depth=1
	s_or_b32 exec_lo, exec_lo, s5
	v_readfirstlane_b32 s5, v0
	s_cmp_eq_u32 s5, 0
	s_cbranch_scc1 .LBB4_684
; %bb.683:                              ;   in Loop: Header=BB4_685 Depth=1
	s_sleep 1
	s_cbranch_execnz .LBB4_685
	s_branch .LBB4_687
	.p2align	6
.LBB4_684:
	s_branch .LBB4_687
.LBB4_685:                              ; =>This Inner Loop Header: Depth=1
	v_mov_b32_e32 v0, 1
	s_and_saveexec_b32 s5, s4
	s_cbranch_execz .LBB4_682
; %bb.686:                              ;   in Loop: Header=BB4_685 Depth=1
	global_load_dword v0, v[8:9], off offset:20 glc dlc
	s_waitcnt vmcnt(0)
	buffer_gl1_inv
	buffer_gl0_inv
	v_and_b32_e32 v0, 1, v0
	s_branch .LBB4_682
.LBB4_687:
	global_load_dwordx2 v[0:1], v[10:11], off
	s_and_saveexec_b32 s5, s4
	s_cbranch_execz .LBB4_691
; %bb.688:
	v_mov_b32_e32 v8, 0
	s_clause 0x2
	global_load_dwordx2 v[4:5], v8, s[26:27] offset:40
	global_load_dwordx2 v[9:10], v8, s[26:27] offset:24 glc dlc
	global_load_dwordx2 v[6:7], v8, s[26:27]
	s_waitcnt vmcnt(2)
	v_add_co_u32 v11, vcc_lo, v4, 1
	v_add_co_ci_u32_e32 v12, vcc_lo, 0, v5, vcc_lo
	v_add_co_u32 v2, vcc_lo, v11, s6
	v_add_co_ci_u32_e32 v3, vcc_lo, s7, v12, vcc_lo
	v_cmp_eq_u64_e32 vcc_lo, 0, v[2:3]
	v_cndmask_b32_e32 v3, v3, v12, vcc_lo
	v_cndmask_b32_e32 v2, v2, v11, vcc_lo
	v_and_b32_e32 v5, v3, v5
	v_and_b32_e32 v4, v2, v4
	v_mul_lo_u32 v5, v5, 24
	v_mul_hi_u32 v11, v4, 24
	v_mul_lo_u32 v4, v4, 24
	v_add_nc_u32_e32 v5, v11, v5
	s_waitcnt vmcnt(0)
	v_add_co_u32 v6, vcc_lo, v6, v4
	v_mov_b32_e32 v4, v9
	v_add_co_ci_u32_e32 v7, vcc_lo, v7, v5, vcc_lo
	v_mov_b32_e32 v5, v10
	global_store_dwordx2 v[6:7], v[9:10], off
	s_waitcnt_vscnt null, 0x0
	global_atomic_cmpswap_x2 v[4:5], v8, v[2:5], s[26:27] offset:24 glc
	s_waitcnt vmcnt(0)
	v_cmp_ne_u64_e32 vcc_lo, v[4:5], v[9:10]
	s_and_b32 exec_lo, exec_lo, vcc_lo
	s_cbranch_execz .LBB4_691
; %bb.689:
	s_mov_b32 s4, 0
.LBB4_690:                              ; =>This Inner Loop Header: Depth=1
	s_sleep 1
	global_store_dwordx2 v[6:7], v[4:5], off
	s_waitcnt_vscnt null, 0x0
	global_atomic_cmpswap_x2 v[9:10], v8, v[2:5], s[26:27] offset:24 glc
	s_waitcnt vmcnt(0)
	v_cmp_eq_u64_e32 vcc_lo, v[9:10], v[4:5]
	v_mov_b32_e32 v4, v9
	v_mov_b32_e32 v5, v10
	s_or_b32 s4, vcc_lo, s4
	s_andn2_b32 exec_lo, exec_lo, s4
	s_cbranch_execnz .LBB4_690
.LBB4_691:
	s_or_b32 exec_lo, exec_lo, s5
	s_and_b32 vcc_lo, exec_lo, s35
	s_cbranch_vccz .LBB4_770
; %bb.692:
	s_waitcnt vmcnt(0)
	v_and_b32_e32 v31, 2, v0
	v_mov_b32_e32 v6, 0
	v_and_b32_e32 v2, -3, v0
	v_mov_b32_e32 v3, v1
	v_mov_b32_e32 v7, 2
	;; [unrolled: 1-line block ×3, first 2 shown]
	s_mov_b64 s[10:11], 3
	s_getpc_b64 s[6:7]
	s_add_u32 s6, s6, .str.6@rel32@lo+4
	s_addc_u32 s7, s7, .str.6@rel32@hi+12
	s_branch .LBB4_694
.LBB4_693:                              ;   in Loop: Header=BB4_694 Depth=1
	s_or_b32 exec_lo, exec_lo, s5
	s_sub_u32 s10, s10, s16
	s_subb_u32 s11, s11, s17
	s_add_u32 s6, s6, s16
	s_addc_u32 s7, s7, s17
	s_cmp_lg_u64 s[10:11], 0
	s_cbranch_scc0 .LBB4_769
.LBB4_694:                              ; =>This Loop Header: Depth=1
                                        ;     Child Loop BB4_703 Depth 2
                                        ;     Child Loop BB4_699 Depth 2
	;; [unrolled: 1-line block ×11, first 2 shown]
	v_cmp_lt_u64_e64 s4, s[10:11], 56
	v_cmp_gt_u64_e64 s5, s[10:11], 7
                                        ; implicit-def: $vgpr11_vgpr12
                                        ; implicit-def: $sgpr22
	s_and_b32 s4, s4, exec_lo
	s_cselect_b32 s17, s11, 0
	s_cselect_b32 s16, s10, 56
	s_and_b32 vcc_lo, exec_lo, s5
	s_mov_b32 s4, -1
	s_cbranch_vccz .LBB4_701
; %bb.695:                              ;   in Loop: Header=BB4_694 Depth=1
	s_andn2_b32 vcc_lo, exec_lo, s4
	s_mov_b64 s[4:5], s[6:7]
	s_cbranch_vccz .LBB4_705
.LBB4_696:                              ;   in Loop: Header=BB4_694 Depth=1
	s_cmp_gt_u32 s22, 7
	s_cbranch_scc1 .LBB4_706
.LBB4_697:                              ;   in Loop: Header=BB4_694 Depth=1
	v_mov_b32_e32 v13, 0
	v_mov_b32_e32 v14, 0
	s_cmp_eq_u32 s22, 0
	s_cbranch_scc1 .LBB4_700
; %bb.698:                              ;   in Loop: Header=BB4_694 Depth=1
	s_mov_b64 s[18:19], 0
	s_mov_b64 s[20:21], 0
.LBB4_699:                              ;   Parent Loop BB4_694 Depth=1
                                        ; =>  This Inner Loop Header: Depth=2
	s_add_u32 s24, s4, s20
	s_addc_u32 s25, s5, s21
	s_add_u32 s20, s20, 1
	global_load_ubyte v4, v6, s[24:25]
	s_addc_u32 s21, s21, 0
	s_waitcnt vmcnt(0)
	v_and_b32_e32 v5, 0xffff, v4
	v_lshlrev_b64 v[4:5], s18, v[5:6]
	s_add_u32 s18, s18, 8
	s_addc_u32 s19, s19, 0
	s_cmp_lg_u32 s22, s20
	v_or_b32_e32 v13, v4, v13
	v_or_b32_e32 v14, v5, v14
	s_cbranch_scc1 .LBB4_699
.LBB4_700:                              ;   in Loop: Header=BB4_694 Depth=1
	s_mov_b32 s23, 0
	s_cbranch_execz .LBB4_707
	s_branch .LBB4_708
.LBB4_701:                              ;   in Loop: Header=BB4_694 Depth=1
	v_mov_b32_e32 v11, 0
	v_mov_b32_e32 v12, 0
	s_cmp_eq_u64 s[10:11], 0
	s_mov_b64 s[4:5], 0
	s_cbranch_scc1 .LBB4_704
; %bb.702:                              ;   in Loop: Header=BB4_694 Depth=1
	v_mov_b32_e32 v11, 0
	v_mov_b32_e32 v12, 0
	s_lshl_b64 s[18:19], s[16:17], 3
	s_mov_b64 s[20:21], s[6:7]
.LBB4_703:                              ;   Parent Loop BB4_694 Depth=1
                                        ; =>  This Inner Loop Header: Depth=2
	global_load_ubyte v4, v6, s[20:21]
	s_waitcnt vmcnt(0)
	v_and_b32_e32 v5, 0xffff, v4
	v_lshlrev_b64 v[4:5], s4, v[5:6]
	s_add_u32 s4, s4, 8
	s_addc_u32 s5, s5, 0
	s_add_u32 s20, s20, 1
	s_addc_u32 s21, s21, 0
	s_cmp_lg_u32 s18, s4
	v_or_b32_e32 v11, v4, v11
	v_or_b32_e32 v12, v5, v12
	s_cbranch_scc1 .LBB4_703
.LBB4_704:                              ;   in Loop: Header=BB4_694 Depth=1
	s_mov_b32 s22, 0
	s_mov_b64 s[4:5], s[6:7]
	s_cbranch_execnz .LBB4_696
.LBB4_705:                              ;   in Loop: Header=BB4_694 Depth=1
	global_load_dwordx2 v[11:12], v6, s[6:7]
	s_add_i32 s22, s16, -8
	s_add_u32 s4, s6, 8
	s_addc_u32 s5, s7, 0
	s_cmp_gt_u32 s22, 7
	s_cbranch_scc0 .LBB4_697
.LBB4_706:                              ;   in Loop: Header=BB4_694 Depth=1
                                        ; implicit-def: $vgpr13_vgpr14
                                        ; implicit-def: $sgpr23
.LBB4_707:                              ;   in Loop: Header=BB4_694 Depth=1
	global_load_dwordx2 v[13:14], v6, s[4:5]
	s_add_i32 s23, s22, -8
	s_add_u32 s4, s4, 8
	s_addc_u32 s5, s5, 0
.LBB4_708:                              ;   in Loop: Header=BB4_694 Depth=1
	s_cmp_gt_u32 s23, 7
	s_cbranch_scc1 .LBB4_713
; %bb.709:                              ;   in Loop: Header=BB4_694 Depth=1
	v_mov_b32_e32 v15, 0
	v_mov_b32_e32 v16, 0
	s_cmp_eq_u32 s23, 0
	s_cbranch_scc1 .LBB4_712
; %bb.710:                              ;   in Loop: Header=BB4_694 Depth=1
	s_mov_b64 s[18:19], 0
	s_mov_b64 s[20:21], 0
.LBB4_711:                              ;   Parent Loop BB4_694 Depth=1
                                        ; =>  This Inner Loop Header: Depth=2
	s_add_u32 s24, s4, s20
	s_addc_u32 s25, s5, s21
	s_add_u32 s20, s20, 1
	global_load_ubyte v4, v6, s[24:25]
	s_addc_u32 s21, s21, 0
	s_waitcnt vmcnt(0)
	v_and_b32_e32 v5, 0xffff, v4
	v_lshlrev_b64 v[4:5], s18, v[5:6]
	s_add_u32 s18, s18, 8
	s_addc_u32 s19, s19, 0
	s_cmp_lg_u32 s23, s20
	v_or_b32_e32 v15, v4, v15
	v_or_b32_e32 v16, v5, v16
	s_cbranch_scc1 .LBB4_711
.LBB4_712:                              ;   in Loop: Header=BB4_694 Depth=1
	s_mov_b32 s22, 0
	s_cbranch_execz .LBB4_714
	s_branch .LBB4_715
.LBB4_713:                              ;   in Loop: Header=BB4_694 Depth=1
                                        ; implicit-def: $sgpr22
.LBB4_714:                              ;   in Loop: Header=BB4_694 Depth=1
	global_load_dwordx2 v[15:16], v6, s[4:5]
	s_add_i32 s22, s23, -8
	s_add_u32 s4, s4, 8
	s_addc_u32 s5, s5, 0
.LBB4_715:                              ;   in Loop: Header=BB4_694 Depth=1
	s_cmp_gt_u32 s22, 7
	s_cbranch_scc1 .LBB4_720
; %bb.716:                              ;   in Loop: Header=BB4_694 Depth=1
	v_mov_b32_e32 v17, 0
	v_mov_b32_e32 v18, 0
	s_cmp_eq_u32 s22, 0
	s_cbranch_scc1 .LBB4_719
; %bb.717:                              ;   in Loop: Header=BB4_694 Depth=1
	s_mov_b64 s[18:19], 0
	s_mov_b64 s[20:21], 0
.LBB4_718:                              ;   Parent Loop BB4_694 Depth=1
                                        ; =>  This Inner Loop Header: Depth=2
	s_add_u32 s24, s4, s20
	s_addc_u32 s25, s5, s21
	s_add_u32 s20, s20, 1
	global_load_ubyte v4, v6, s[24:25]
	s_addc_u32 s21, s21, 0
	s_waitcnt vmcnt(0)
	v_and_b32_e32 v5, 0xffff, v4
	v_lshlrev_b64 v[4:5], s18, v[5:6]
	s_add_u32 s18, s18, 8
	s_addc_u32 s19, s19, 0
	s_cmp_lg_u32 s22, s20
	v_or_b32_e32 v17, v4, v17
	v_or_b32_e32 v18, v5, v18
	s_cbranch_scc1 .LBB4_718
.LBB4_719:                              ;   in Loop: Header=BB4_694 Depth=1
	s_mov_b32 s23, 0
	s_cbranch_execz .LBB4_721
	s_branch .LBB4_722
.LBB4_720:                              ;   in Loop: Header=BB4_694 Depth=1
                                        ; implicit-def: $vgpr17_vgpr18
                                        ; implicit-def: $sgpr23
.LBB4_721:                              ;   in Loop: Header=BB4_694 Depth=1
	global_load_dwordx2 v[17:18], v6, s[4:5]
	s_add_i32 s23, s22, -8
	s_add_u32 s4, s4, 8
	s_addc_u32 s5, s5, 0
.LBB4_722:                              ;   in Loop: Header=BB4_694 Depth=1
	s_cmp_gt_u32 s23, 7
	s_cbranch_scc1 .LBB4_727
; %bb.723:                              ;   in Loop: Header=BB4_694 Depth=1
	v_mov_b32_e32 v19, 0
	v_mov_b32_e32 v20, 0
	s_cmp_eq_u32 s23, 0
	s_cbranch_scc1 .LBB4_726
; %bb.724:                              ;   in Loop: Header=BB4_694 Depth=1
	s_mov_b64 s[18:19], 0
	s_mov_b64 s[20:21], 0
.LBB4_725:                              ;   Parent Loop BB4_694 Depth=1
                                        ; =>  This Inner Loop Header: Depth=2
	s_add_u32 s24, s4, s20
	s_addc_u32 s25, s5, s21
	s_add_u32 s20, s20, 1
	global_load_ubyte v4, v6, s[24:25]
	s_addc_u32 s21, s21, 0
	s_waitcnt vmcnt(0)
	v_and_b32_e32 v5, 0xffff, v4
	v_lshlrev_b64 v[4:5], s18, v[5:6]
	s_add_u32 s18, s18, 8
	s_addc_u32 s19, s19, 0
	s_cmp_lg_u32 s23, s20
	v_or_b32_e32 v19, v4, v19
	v_or_b32_e32 v20, v5, v20
	s_cbranch_scc1 .LBB4_725
.LBB4_726:                              ;   in Loop: Header=BB4_694 Depth=1
	s_mov_b32 s22, 0
	s_cbranch_execz .LBB4_728
	s_branch .LBB4_729
.LBB4_727:                              ;   in Loop: Header=BB4_694 Depth=1
                                        ; implicit-def: $sgpr22
.LBB4_728:                              ;   in Loop: Header=BB4_694 Depth=1
	global_load_dwordx2 v[19:20], v6, s[4:5]
	s_add_i32 s22, s23, -8
	s_add_u32 s4, s4, 8
	s_addc_u32 s5, s5, 0
.LBB4_729:                              ;   in Loop: Header=BB4_694 Depth=1
	s_cmp_gt_u32 s22, 7
	s_cbranch_scc1 .LBB4_734
; %bb.730:                              ;   in Loop: Header=BB4_694 Depth=1
	v_mov_b32_e32 v21, 0
	v_mov_b32_e32 v22, 0
	s_cmp_eq_u32 s22, 0
	s_cbranch_scc1 .LBB4_733
; %bb.731:                              ;   in Loop: Header=BB4_694 Depth=1
	s_mov_b64 s[18:19], 0
	s_mov_b64 s[20:21], 0
.LBB4_732:                              ;   Parent Loop BB4_694 Depth=1
                                        ; =>  This Inner Loop Header: Depth=2
	s_add_u32 s24, s4, s20
	s_addc_u32 s25, s5, s21
	s_add_u32 s20, s20, 1
	global_load_ubyte v4, v6, s[24:25]
	s_addc_u32 s21, s21, 0
	s_waitcnt vmcnt(0)
	v_and_b32_e32 v5, 0xffff, v4
	v_lshlrev_b64 v[4:5], s18, v[5:6]
	s_add_u32 s18, s18, 8
	s_addc_u32 s19, s19, 0
	s_cmp_lg_u32 s22, s20
	v_or_b32_e32 v21, v4, v21
	v_or_b32_e32 v22, v5, v22
	s_cbranch_scc1 .LBB4_732
.LBB4_733:                              ;   in Loop: Header=BB4_694 Depth=1
	s_mov_b32 s23, 0
	s_cbranch_execz .LBB4_735
	s_branch .LBB4_736
.LBB4_734:                              ;   in Loop: Header=BB4_694 Depth=1
                                        ; implicit-def: $vgpr21_vgpr22
                                        ; implicit-def: $sgpr23
.LBB4_735:                              ;   in Loop: Header=BB4_694 Depth=1
	global_load_dwordx2 v[21:22], v6, s[4:5]
	s_add_i32 s23, s22, -8
	s_add_u32 s4, s4, 8
	s_addc_u32 s5, s5, 0
.LBB4_736:                              ;   in Loop: Header=BB4_694 Depth=1
	s_cmp_gt_u32 s23, 7
	s_cbranch_scc1 .LBB4_741
; %bb.737:                              ;   in Loop: Header=BB4_694 Depth=1
	v_mov_b32_e32 v23, 0
	v_mov_b32_e32 v24, 0
	s_cmp_eq_u32 s23, 0
	s_cbranch_scc1 .LBB4_740
; %bb.738:                              ;   in Loop: Header=BB4_694 Depth=1
	s_mov_b64 s[18:19], 0
	s_mov_b64 s[20:21], s[4:5]
.LBB4_739:                              ;   Parent Loop BB4_694 Depth=1
                                        ; =>  This Inner Loop Header: Depth=2
	global_load_ubyte v4, v6, s[20:21]
	s_add_i32 s23, s23, -1
	s_waitcnt vmcnt(0)
	v_and_b32_e32 v5, 0xffff, v4
	v_lshlrev_b64 v[4:5], s18, v[5:6]
	s_add_u32 s18, s18, 8
	s_addc_u32 s19, s19, 0
	s_add_u32 s20, s20, 1
	s_addc_u32 s21, s21, 0
	s_cmp_lg_u32 s23, 0
	v_or_b32_e32 v23, v4, v23
	v_or_b32_e32 v24, v5, v24
	s_cbranch_scc1 .LBB4_739
.LBB4_740:                              ;   in Loop: Header=BB4_694 Depth=1
	s_cbranch_execz .LBB4_742
	s_branch .LBB4_743
.LBB4_741:                              ;   in Loop: Header=BB4_694 Depth=1
.LBB4_742:                              ;   in Loop: Header=BB4_694 Depth=1
	global_load_dwordx2 v[23:24], v6, s[4:5]
.LBB4_743:                              ;   in Loop: Header=BB4_694 Depth=1
	v_readfirstlane_b32 s4, v50
	s_waitcnt vmcnt(0)
	v_mov_b32_e32 v4, 0
	v_mov_b32_e32 v5, 0
	v_cmp_eq_u32_e64 s4, s4, v50
	s_and_saveexec_b32 s5, s4
	s_cbranch_execz .LBB4_749
; %bb.744:                              ;   in Loop: Header=BB4_694 Depth=1
	global_load_dwordx2 v[27:28], v6, s[26:27] offset:24 glc dlc
	s_waitcnt vmcnt(0)
	buffer_gl1_inv
	buffer_gl0_inv
	s_clause 0x1
	global_load_dwordx2 v[4:5], v6, s[26:27] offset:40
	global_load_dwordx2 v[9:10], v6, s[26:27]
	s_mov_b32 s18, exec_lo
	s_waitcnt vmcnt(1)
	v_and_b32_e32 v5, v5, v28
	v_and_b32_e32 v4, v4, v27
	v_mul_lo_u32 v5, v5, 24
	v_mul_hi_u32 v25, v4, 24
	v_mul_lo_u32 v4, v4, 24
	v_add_nc_u32_e32 v5, v25, v5
	s_waitcnt vmcnt(0)
	v_add_co_u32 v4, vcc_lo, v9, v4
	v_add_co_ci_u32_e32 v5, vcc_lo, v10, v5, vcc_lo
	global_load_dwordx2 v[25:26], v[4:5], off glc dlc
	s_waitcnt vmcnt(0)
	global_atomic_cmpswap_x2 v[4:5], v6, v[25:28], s[26:27] offset:24 glc
	s_waitcnt vmcnt(0)
	buffer_gl1_inv
	buffer_gl0_inv
	v_cmpx_ne_u64_e64 v[4:5], v[27:28]
	s_cbranch_execz .LBB4_748
; %bb.745:                              ;   in Loop: Header=BB4_694 Depth=1
	s_mov_b32 s19, 0
	.p2align	6
.LBB4_746:                              ;   Parent Loop BB4_694 Depth=1
                                        ; =>  This Inner Loop Header: Depth=2
	s_sleep 1
	s_clause 0x1
	global_load_dwordx2 v[9:10], v6, s[26:27] offset:40
	global_load_dwordx2 v[25:26], v6, s[26:27]
	v_mov_b32_e32 v28, v5
	v_mov_b32_e32 v27, v4
	s_waitcnt vmcnt(1)
	v_and_b32_e32 v4, v9, v27
	v_and_b32_e32 v9, v10, v28
	s_waitcnt vmcnt(0)
	v_mad_u64_u32 v[4:5], null, v4, 24, v[25:26]
	v_mad_u64_u32 v[9:10], null, v9, 24, v[5:6]
	v_mov_b32_e32 v5, v9
	global_load_dwordx2 v[25:26], v[4:5], off glc dlc
	s_waitcnt vmcnt(0)
	global_atomic_cmpswap_x2 v[4:5], v6, v[25:28], s[26:27] offset:24 glc
	s_waitcnt vmcnt(0)
	buffer_gl1_inv
	buffer_gl0_inv
	v_cmp_eq_u64_e32 vcc_lo, v[4:5], v[27:28]
	s_or_b32 s19, vcc_lo, s19
	s_andn2_b32 exec_lo, exec_lo, s19
	s_cbranch_execnz .LBB4_746
; %bb.747:                              ;   in Loop: Header=BB4_694 Depth=1
	s_or_b32 exec_lo, exec_lo, s19
.LBB4_748:                              ;   in Loop: Header=BB4_694 Depth=1
	s_or_b32 exec_lo, exec_lo, s18
.LBB4_749:                              ;   in Loop: Header=BB4_694 Depth=1
	s_or_b32 exec_lo, exec_lo, s5
	s_clause 0x1
	global_load_dwordx2 v[9:10], v6, s[26:27] offset:40
	global_load_dwordx4 v[25:28], v6, s[26:27]
	v_readfirstlane_b32 s18, v4
	v_readfirstlane_b32 s19, v5
	s_mov_b32 s5, exec_lo
	s_waitcnt vmcnt(1)
	v_readfirstlane_b32 s20, v9
	v_readfirstlane_b32 s21, v10
	s_and_b64 s[20:21], s[18:19], s[20:21]
	s_mul_i32 s22, s21, 24
	s_mul_hi_u32 s23, s20, 24
	s_mul_i32 s24, s20, 24
	s_add_i32 s23, s23, s22
	s_waitcnt vmcnt(0)
	v_add_co_u32 v29, vcc_lo, v25, s24
	v_add_co_ci_u32_e32 v30, vcc_lo, s23, v26, vcc_lo
	s_and_saveexec_b32 s22, s4
	s_cbranch_execz .LBB4_751
; %bb.750:                              ;   in Loop: Header=BB4_694 Depth=1
	v_mov_b32_e32 v5, s5
	global_store_dwordx4 v[29:30], v[5:8], off offset:8
.LBB4_751:                              ;   in Loop: Header=BB4_694 Depth=1
	s_or_b32 exec_lo, exec_lo, s22
	s_lshl_b64 s[20:21], s[20:21], 12
	v_cmp_gt_u64_e64 vcc_lo, s[10:11], 56
	v_or_b32_e32 v5, v2, v31
	v_add_co_u32 v27, s5, v27, s20
	v_add_co_ci_u32_e64 v28, s5, s21, v28, s5
	s_lshl_b32 s5, s16, 2
	v_or_b32_e32 v4, 0, v3
	v_cndmask_b32_e32 v2, v5, v2, vcc_lo
	s_add_i32 s5, s5, 28
	v_readfirstlane_b32 s20, v27
	s_and_b32 s5, s5, 0x1e0
	v_cndmask_b32_e32 v10, v4, v3, vcc_lo
	v_readfirstlane_b32 s21, v28
	v_and_or_b32 v9, 0xffffff1f, v2, s5
	global_store_dwordx4 v39, v[9:12], s[20:21]
	global_store_dwordx4 v39, v[13:16], s[20:21] offset:16
	global_store_dwordx4 v39, v[17:20], s[20:21] offset:32
	;; [unrolled: 1-line block ×3, first 2 shown]
	s_and_saveexec_b32 s5, s4
	s_cbranch_execz .LBB4_759
; %bb.752:                              ;   in Loop: Header=BB4_694 Depth=1
	s_clause 0x1
	global_load_dwordx2 v[13:14], v6, s[26:27] offset:32 glc dlc
	global_load_dwordx2 v[2:3], v6, s[26:27] offset:40
	v_mov_b32_e32 v11, s18
	v_mov_b32_e32 v12, s19
	s_waitcnt vmcnt(0)
	v_readfirstlane_b32 s20, v2
	v_readfirstlane_b32 s21, v3
	s_and_b64 s[20:21], s[20:21], s[18:19]
	s_mul_i32 s21, s21, 24
	s_mul_hi_u32 s22, s20, 24
	s_mul_i32 s20, s20, 24
	s_add_i32 s22, s22, s21
	v_add_co_u32 v9, vcc_lo, v25, s20
	v_add_co_ci_u32_e32 v10, vcc_lo, s22, v26, vcc_lo
	s_mov_b32 s20, exec_lo
	global_store_dwordx2 v[9:10], v[13:14], off
	s_waitcnt_vscnt null, 0x0
	global_atomic_cmpswap_x2 v[4:5], v6, v[11:14], s[26:27] offset:32 glc
	s_waitcnt vmcnt(0)
	v_cmpx_ne_u64_e64 v[4:5], v[13:14]
	s_cbranch_execz .LBB4_755
; %bb.753:                              ;   in Loop: Header=BB4_694 Depth=1
	s_mov_b32 s21, 0
.LBB4_754:                              ;   Parent Loop BB4_694 Depth=1
                                        ; =>  This Inner Loop Header: Depth=2
	v_mov_b32_e32 v2, s18
	v_mov_b32_e32 v3, s19
	s_sleep 1
	global_store_dwordx2 v[9:10], v[4:5], off
	s_waitcnt_vscnt null, 0x0
	global_atomic_cmpswap_x2 v[2:3], v6, v[2:5], s[26:27] offset:32 glc
	s_waitcnt vmcnt(0)
	v_cmp_eq_u64_e32 vcc_lo, v[2:3], v[4:5]
	v_mov_b32_e32 v5, v3
	v_mov_b32_e32 v4, v2
	s_or_b32 s21, vcc_lo, s21
	s_andn2_b32 exec_lo, exec_lo, s21
	s_cbranch_execnz .LBB4_754
.LBB4_755:                              ;   in Loop: Header=BB4_694 Depth=1
	s_or_b32 exec_lo, exec_lo, s20
	global_load_dwordx2 v[2:3], v6, s[26:27] offset:16
	s_mov_b32 s21, exec_lo
	s_mov_b32 s20, exec_lo
	v_mbcnt_lo_u32_b32 v4, s21, 0
	v_cmpx_eq_u32_e32 0, v4
	s_cbranch_execz .LBB4_757
; %bb.756:                              ;   in Loop: Header=BB4_694 Depth=1
	s_bcnt1_i32_b32 s21, s21
	v_mov_b32_e32 v5, s21
	s_waitcnt vmcnt(0)
	global_atomic_add_x2 v[2:3], v[5:6], off offset:8
.LBB4_757:                              ;   in Loop: Header=BB4_694 Depth=1
	s_or_b32 exec_lo, exec_lo, s20
	s_waitcnt vmcnt(0)
	global_load_dwordx2 v[9:10], v[2:3], off offset:16
	s_waitcnt vmcnt(0)
	v_cmp_eq_u64_e32 vcc_lo, 0, v[9:10]
	s_cbranch_vccnz .LBB4_759
; %bb.758:                              ;   in Loop: Header=BB4_694 Depth=1
	global_load_dword v5, v[2:3], off offset:24
	s_waitcnt vmcnt(0)
	v_and_b32_e32 v2, 0x7fffff, v5
	s_waitcnt_vscnt null, 0x0
	global_store_dwordx2 v[9:10], v[5:6], off
	v_readfirstlane_b32 m0, v2
	s_sendmsg sendmsg(MSG_INTERRUPT)
.LBB4_759:                              ;   in Loop: Header=BB4_694 Depth=1
	s_or_b32 exec_lo, exec_lo, s5
	v_add_co_u32 v2, vcc_lo, v27, v39
	v_add_co_ci_u32_e32 v3, vcc_lo, 0, v28, vcc_lo
	s_branch .LBB4_763
	.p2align	6
.LBB4_760:                              ;   in Loop: Header=BB4_763 Depth=2
	s_or_b32 exec_lo, exec_lo, s5
	v_readfirstlane_b32 s5, v4
	s_cmp_eq_u32 s5, 0
	s_cbranch_scc1 .LBB4_762
; %bb.761:                              ;   in Loop: Header=BB4_763 Depth=2
	s_sleep 1
	s_cbranch_execnz .LBB4_763
	s_branch .LBB4_765
	.p2align	6
.LBB4_762:                              ;   in Loop: Header=BB4_694 Depth=1
	s_branch .LBB4_765
.LBB4_763:                              ;   Parent Loop BB4_694 Depth=1
                                        ; =>  This Inner Loop Header: Depth=2
	v_mov_b32_e32 v4, 1
	s_and_saveexec_b32 s5, s4
	s_cbranch_execz .LBB4_760
; %bb.764:                              ;   in Loop: Header=BB4_763 Depth=2
	global_load_dword v4, v[29:30], off offset:20 glc dlc
	s_waitcnt vmcnt(0)
	buffer_gl1_inv
	buffer_gl0_inv
	v_and_b32_e32 v4, 1, v4
	s_branch .LBB4_760
.LBB4_765:                              ;   in Loop: Header=BB4_694 Depth=1
	global_load_dwordx4 v[2:5], v[2:3], off
	s_and_saveexec_b32 s5, s4
	s_cbranch_execz .LBB4_693
; %bb.766:                              ;   in Loop: Header=BB4_694 Depth=1
	s_clause 0x2
	global_load_dwordx2 v[4:5], v6, s[26:27] offset:40
	global_load_dwordx2 v[13:14], v6, s[26:27] offset:24 glc dlc
	global_load_dwordx2 v[11:12], v6, s[26:27]
	s_waitcnt vmcnt(2)
	v_add_co_u32 v15, vcc_lo, v4, 1
	v_add_co_ci_u32_e32 v16, vcc_lo, 0, v5, vcc_lo
	v_add_co_u32 v9, vcc_lo, v15, s18
	v_add_co_ci_u32_e32 v10, vcc_lo, s19, v16, vcc_lo
	v_cmp_eq_u64_e32 vcc_lo, 0, v[9:10]
	v_cndmask_b32_e32 v10, v10, v16, vcc_lo
	v_cndmask_b32_e32 v9, v9, v15, vcc_lo
	v_and_b32_e32 v5, v10, v5
	v_and_b32_e32 v4, v9, v4
	v_mul_lo_u32 v5, v5, 24
	v_mul_hi_u32 v15, v4, 24
	v_mul_lo_u32 v4, v4, 24
	v_add_nc_u32_e32 v5, v15, v5
	s_waitcnt vmcnt(0)
	v_add_co_u32 v4, vcc_lo, v11, v4
	v_mov_b32_e32 v11, v13
	v_add_co_ci_u32_e32 v5, vcc_lo, v12, v5, vcc_lo
	v_mov_b32_e32 v12, v14
	global_store_dwordx2 v[4:5], v[13:14], off
	s_waitcnt_vscnt null, 0x0
	global_atomic_cmpswap_x2 v[11:12], v6, v[9:12], s[26:27] offset:24 glc
	s_waitcnt vmcnt(0)
	v_cmp_ne_u64_e32 vcc_lo, v[11:12], v[13:14]
	s_and_b32 exec_lo, exec_lo, vcc_lo
	s_cbranch_execz .LBB4_693
; %bb.767:                              ;   in Loop: Header=BB4_694 Depth=1
	s_mov_b32 s4, 0
.LBB4_768:                              ;   Parent Loop BB4_694 Depth=1
                                        ; =>  This Inner Loop Header: Depth=2
	s_sleep 1
	global_store_dwordx2 v[4:5], v[11:12], off
	s_waitcnt_vscnt null, 0x0
	global_atomic_cmpswap_x2 v[13:14], v6, v[9:12], s[26:27] offset:24 glc
	s_waitcnt vmcnt(0)
	v_cmp_eq_u64_e32 vcc_lo, v[13:14], v[11:12]
	v_mov_b32_e32 v11, v13
	v_mov_b32_e32 v12, v14
	s_or_b32 s4, vcc_lo, s4
	s_andn2_b32 exec_lo, exec_lo, s4
	s_cbranch_execnz .LBB4_768
	s_branch .LBB4_693
.LBB4_769:
	s_branch .LBB4_798
.LBB4_770:
                                        ; implicit-def: $vgpr2_vgpr3
	s_cbranch_execz .LBB4_798
; %bb.771:
	v_readfirstlane_b32 s4, v50
	v_mov_b32_e32 v8, 0
	v_mov_b32_e32 v9, 0
	v_cmp_eq_u32_e64 s4, s4, v50
	s_and_saveexec_b32 s5, s4
	s_cbranch_execz .LBB4_777
; %bb.772:
	s_waitcnt vmcnt(0)
	v_mov_b32_e32 v2, 0
	s_mov_b32 s6, exec_lo
	global_load_dwordx2 v[5:6], v2, s[26:27] offset:24 glc dlc
	s_waitcnt vmcnt(0)
	buffer_gl1_inv
	buffer_gl0_inv
	s_clause 0x1
	global_load_dwordx2 v[3:4], v2, s[26:27] offset:40
	global_load_dwordx2 v[7:8], v2, s[26:27]
	s_waitcnt vmcnt(1)
	v_and_b32_e32 v4, v4, v6
	v_and_b32_e32 v3, v3, v5
	v_mul_lo_u32 v4, v4, 24
	v_mul_hi_u32 v9, v3, 24
	v_mul_lo_u32 v3, v3, 24
	v_add_nc_u32_e32 v4, v9, v4
	s_waitcnt vmcnt(0)
	v_add_co_u32 v3, vcc_lo, v7, v3
	v_add_co_ci_u32_e32 v4, vcc_lo, v8, v4, vcc_lo
	global_load_dwordx2 v[3:4], v[3:4], off glc dlc
	s_waitcnt vmcnt(0)
	global_atomic_cmpswap_x2 v[8:9], v2, v[3:6], s[26:27] offset:24 glc
	s_waitcnt vmcnt(0)
	buffer_gl1_inv
	buffer_gl0_inv
	v_cmpx_ne_u64_e64 v[8:9], v[5:6]
	s_cbranch_execz .LBB4_776
; %bb.773:
	s_mov_b32 s7, 0
	.p2align	6
.LBB4_774:                              ; =>This Inner Loop Header: Depth=1
	s_sleep 1
	s_clause 0x1
	global_load_dwordx2 v[3:4], v2, s[26:27] offset:40
	global_load_dwordx2 v[10:11], v2, s[26:27]
	v_mov_b32_e32 v5, v8
	v_mov_b32_e32 v6, v9
	s_waitcnt vmcnt(1)
	v_and_b32_e32 v3, v3, v5
	v_and_b32_e32 v4, v4, v6
	s_waitcnt vmcnt(0)
	v_mad_u64_u32 v[7:8], null, v3, 24, v[10:11]
	v_mov_b32_e32 v3, v8
	v_mad_u64_u32 v[3:4], null, v4, 24, v[3:4]
	v_mov_b32_e32 v8, v3
	global_load_dwordx2 v[3:4], v[7:8], off glc dlc
	s_waitcnt vmcnt(0)
	global_atomic_cmpswap_x2 v[8:9], v2, v[3:6], s[26:27] offset:24 glc
	s_waitcnt vmcnt(0)
	buffer_gl1_inv
	buffer_gl0_inv
	v_cmp_eq_u64_e32 vcc_lo, v[8:9], v[5:6]
	s_or_b32 s7, vcc_lo, s7
	s_andn2_b32 exec_lo, exec_lo, s7
	s_cbranch_execnz .LBB4_774
; %bb.775:
	s_or_b32 exec_lo, exec_lo, s7
.LBB4_776:
	s_or_b32 exec_lo, exec_lo, s6
.LBB4_777:
	s_or_b32 exec_lo, exec_lo, s5
	s_waitcnt vmcnt(0)
	v_mov_b32_e32 v2, 0
	v_readfirstlane_b32 s6, v8
	v_readfirstlane_b32 s7, v9
	s_mov_b32 s5, exec_lo
	s_clause 0x1
	global_load_dwordx2 v[10:11], v2, s[26:27] offset:40
	global_load_dwordx4 v[4:7], v2, s[26:27]
	s_waitcnt vmcnt(1)
	v_readfirstlane_b32 s10, v10
	v_readfirstlane_b32 s11, v11
	s_and_b64 s[10:11], s[6:7], s[10:11]
	s_mul_i32 s16, s11, 24
	s_mul_hi_u32 s17, s10, 24
	s_mul_i32 s18, s10, 24
	s_add_i32 s17, s17, s16
	s_waitcnt vmcnt(0)
	v_add_co_u32 v8, vcc_lo, v4, s18
	v_add_co_ci_u32_e32 v9, vcc_lo, s17, v5, vcc_lo
	s_and_saveexec_b32 s16, s4
	s_cbranch_execz .LBB4_779
; %bb.778:
	v_mov_b32_e32 v10, s5
	v_mov_b32_e32 v11, v2
	;; [unrolled: 1-line block ×4, first 2 shown]
	global_store_dwordx4 v[8:9], v[10:13], off offset:8
.LBB4_779:
	s_or_b32 exec_lo, exec_lo, s16
	s_lshl_b64 s[10:11], s[10:11], 12
	s_mov_b32 s16, 0
	v_add_co_u32 v6, vcc_lo, v6, s10
	v_add_co_ci_u32_e32 v7, vcc_lo, s11, v7, vcc_lo
	s_mov_b32 s17, s16
	v_readfirstlane_b32 s10, v6
	v_add_co_u32 v6, vcc_lo, v6, v39
	s_mov_b32 s18, s16
	s_mov_b32 s19, s16
	v_and_or_b32 v0, 0xffffff1f, v0, 32
	v_mov_b32_e32 v3, v2
	v_readfirstlane_b32 s11, v7
	v_mov_b32_e32 v10, s16
	v_add_co_ci_u32_e32 v7, vcc_lo, 0, v7, vcc_lo
	v_mov_b32_e32 v11, s17
	v_mov_b32_e32 v12, s18
	;; [unrolled: 1-line block ×3, first 2 shown]
	global_store_dwordx4 v39, v[0:3], s[10:11]
	global_store_dwordx4 v39, v[10:13], s[10:11] offset:16
	global_store_dwordx4 v39, v[10:13], s[10:11] offset:32
	;; [unrolled: 1-line block ×3, first 2 shown]
	s_and_saveexec_b32 s5, s4
	s_cbranch_execz .LBB4_787
; %bb.780:
	v_mov_b32_e32 v10, 0
	v_mov_b32_e32 v11, s6
	;; [unrolled: 1-line block ×3, first 2 shown]
	s_clause 0x1
	global_load_dwordx2 v[13:14], v10, s[26:27] offset:32 glc dlc
	global_load_dwordx2 v[0:1], v10, s[26:27] offset:40
	s_waitcnt vmcnt(0)
	v_readfirstlane_b32 s10, v0
	v_readfirstlane_b32 s11, v1
	s_and_b64 s[10:11], s[10:11], s[6:7]
	s_mul_i32 s11, s11, 24
	s_mul_hi_u32 s16, s10, 24
	s_mul_i32 s10, s10, 24
	s_add_i32 s16, s16, s11
	v_add_co_u32 v4, vcc_lo, v4, s10
	v_add_co_ci_u32_e32 v5, vcc_lo, s16, v5, vcc_lo
	s_mov_b32 s10, exec_lo
	global_store_dwordx2 v[4:5], v[13:14], off
	s_waitcnt_vscnt null, 0x0
	global_atomic_cmpswap_x2 v[2:3], v10, v[11:14], s[26:27] offset:32 glc
	s_waitcnt vmcnt(0)
	v_cmpx_ne_u64_e64 v[2:3], v[13:14]
	s_cbranch_execz .LBB4_783
; %bb.781:
	s_mov_b32 s11, 0
.LBB4_782:                              ; =>This Inner Loop Header: Depth=1
	v_mov_b32_e32 v0, s6
	v_mov_b32_e32 v1, s7
	s_sleep 1
	global_store_dwordx2 v[4:5], v[2:3], off
	s_waitcnt_vscnt null, 0x0
	global_atomic_cmpswap_x2 v[0:1], v10, v[0:3], s[26:27] offset:32 glc
	s_waitcnt vmcnt(0)
	v_cmp_eq_u64_e32 vcc_lo, v[0:1], v[2:3]
	v_mov_b32_e32 v3, v1
	v_mov_b32_e32 v2, v0
	s_or_b32 s11, vcc_lo, s11
	s_andn2_b32 exec_lo, exec_lo, s11
	s_cbranch_execnz .LBB4_782
.LBB4_783:
	s_or_b32 exec_lo, exec_lo, s10
	v_mov_b32_e32 v3, 0
	s_mov_b32 s11, exec_lo
	s_mov_b32 s10, exec_lo
	v_mbcnt_lo_u32_b32 v2, s11, 0
	global_load_dwordx2 v[0:1], v3, s[26:27] offset:16
	v_cmpx_eq_u32_e32 0, v2
	s_cbranch_execz .LBB4_785
; %bb.784:
	s_bcnt1_i32_b32 s11, s11
	v_mov_b32_e32 v2, s11
	s_waitcnt vmcnt(0)
	global_atomic_add_x2 v[0:1], v[2:3], off offset:8
.LBB4_785:
	s_or_b32 exec_lo, exec_lo, s10
	s_waitcnt vmcnt(0)
	global_load_dwordx2 v[2:3], v[0:1], off offset:16
	s_waitcnt vmcnt(0)
	v_cmp_eq_u64_e32 vcc_lo, 0, v[2:3]
	s_cbranch_vccnz .LBB4_787
; %bb.786:
	global_load_dword v0, v[0:1], off offset:24
	v_mov_b32_e32 v1, 0
	s_waitcnt vmcnt(0)
	v_and_b32_e32 v4, 0x7fffff, v0
	s_waitcnt_vscnt null, 0x0
	global_store_dwordx2 v[2:3], v[0:1], off
	v_readfirstlane_b32 m0, v4
	s_sendmsg sendmsg(MSG_INTERRUPT)
.LBB4_787:
	s_or_b32 exec_lo, exec_lo, s5
	s_branch .LBB4_791
	.p2align	6
.LBB4_788:                              ;   in Loop: Header=BB4_791 Depth=1
	s_or_b32 exec_lo, exec_lo, s5
	v_readfirstlane_b32 s5, v0
	s_cmp_eq_u32 s5, 0
	s_cbranch_scc1 .LBB4_790
; %bb.789:                              ;   in Loop: Header=BB4_791 Depth=1
	s_sleep 1
	s_cbranch_execnz .LBB4_791
	s_branch .LBB4_793
	.p2align	6
.LBB4_790:
	s_branch .LBB4_793
.LBB4_791:                              ; =>This Inner Loop Header: Depth=1
	v_mov_b32_e32 v0, 1
	s_and_saveexec_b32 s5, s4
	s_cbranch_execz .LBB4_788
; %bb.792:                              ;   in Loop: Header=BB4_791 Depth=1
	global_load_dword v0, v[8:9], off offset:20 glc dlc
	s_waitcnt vmcnt(0)
	buffer_gl1_inv
	buffer_gl0_inv
	v_and_b32_e32 v0, 1, v0
	s_branch .LBB4_788
.LBB4_793:
	global_load_dwordx2 v[2:3], v[6:7], off
	s_and_saveexec_b32 s5, s4
	s_cbranch_execz .LBB4_797
; %bb.794:
	v_mov_b32_e32 v8, 0
	s_clause 0x2
	global_load_dwordx2 v[0:1], v8, s[26:27] offset:40
	global_load_dwordx2 v[9:10], v8, s[26:27] offset:24 glc dlc
	global_load_dwordx2 v[6:7], v8, s[26:27]
	s_waitcnt vmcnt(2)
	v_add_co_u32 v11, vcc_lo, v0, 1
	v_add_co_ci_u32_e32 v12, vcc_lo, 0, v1, vcc_lo
	v_add_co_u32 v4, vcc_lo, v11, s6
	v_add_co_ci_u32_e32 v5, vcc_lo, s7, v12, vcc_lo
	v_cmp_eq_u64_e32 vcc_lo, 0, v[4:5]
	v_cndmask_b32_e32 v5, v5, v12, vcc_lo
	v_cndmask_b32_e32 v4, v4, v11, vcc_lo
	v_and_b32_e32 v1, v5, v1
	v_and_b32_e32 v0, v4, v0
	v_mul_lo_u32 v1, v1, 24
	v_mul_hi_u32 v11, v0, 24
	v_mul_lo_u32 v0, v0, 24
	v_add_nc_u32_e32 v1, v11, v1
	s_waitcnt vmcnt(0)
	v_add_co_u32 v0, vcc_lo, v6, v0
	v_mov_b32_e32 v6, v9
	v_add_co_ci_u32_e32 v1, vcc_lo, v7, v1, vcc_lo
	v_mov_b32_e32 v7, v10
	global_store_dwordx2 v[0:1], v[9:10], off
	s_waitcnt_vscnt null, 0x0
	global_atomic_cmpswap_x2 v[6:7], v8, v[4:7], s[26:27] offset:24 glc
	s_waitcnt vmcnt(0)
	v_cmp_ne_u64_e32 vcc_lo, v[6:7], v[9:10]
	s_and_b32 exec_lo, exec_lo, vcc_lo
	s_cbranch_execz .LBB4_797
; %bb.795:
	s_mov_b32 s4, 0
.LBB4_796:                              ; =>This Inner Loop Header: Depth=1
	s_sleep 1
	global_store_dwordx2 v[0:1], v[6:7], off
	s_waitcnt_vscnt null, 0x0
	global_atomic_cmpswap_x2 v[9:10], v8, v[4:7], s[26:27] offset:24 glc
	s_waitcnt vmcnt(0)
	v_cmp_eq_u64_e32 vcc_lo, v[9:10], v[6:7]
	v_mov_b32_e32 v6, v9
	v_mov_b32_e32 v7, v10
	s_or_b32 s4, vcc_lo, s4
	s_andn2_b32 exec_lo, exec_lo, s4
	s_cbranch_execnz .LBB4_796
.LBB4_797:
	s_or_b32 exec_lo, exec_lo, s5
.LBB4_798:
	v_readfirstlane_b32 s4, v50
	s_waitcnt vmcnt(0)
	v_mov_b32_e32 v0, 0
	v_mov_b32_e32 v1, 0
	v_cmp_eq_u32_e64 s4, s4, v50
	s_and_saveexec_b32 s5, s4
	s_cbranch_execz .LBB4_804
; %bb.799:
	v_mov_b32_e32 v4, 0
	s_mov_b32 s6, exec_lo
	global_load_dwordx2 v[7:8], v4, s[26:27] offset:24 glc dlc
	s_waitcnt vmcnt(0)
	buffer_gl1_inv
	buffer_gl0_inv
	s_clause 0x1
	global_load_dwordx2 v[0:1], v4, s[26:27] offset:40
	global_load_dwordx2 v[5:6], v4, s[26:27]
	s_waitcnt vmcnt(1)
	v_and_b32_e32 v1, v1, v8
	v_and_b32_e32 v0, v0, v7
	v_mul_lo_u32 v1, v1, 24
	v_mul_hi_u32 v9, v0, 24
	v_mul_lo_u32 v0, v0, 24
	v_add_nc_u32_e32 v1, v9, v1
	s_waitcnt vmcnt(0)
	v_add_co_u32 v0, vcc_lo, v5, v0
	v_add_co_ci_u32_e32 v1, vcc_lo, v6, v1, vcc_lo
	global_load_dwordx2 v[5:6], v[0:1], off glc dlc
	s_waitcnt vmcnt(0)
	global_atomic_cmpswap_x2 v[0:1], v4, v[5:8], s[26:27] offset:24 glc
	s_waitcnt vmcnt(0)
	buffer_gl1_inv
	buffer_gl0_inv
	v_cmpx_ne_u64_e64 v[0:1], v[7:8]
	s_cbranch_execz .LBB4_803
; %bb.800:
	s_mov_b32 s7, 0
	.p2align	6
.LBB4_801:                              ; =>This Inner Loop Header: Depth=1
	s_sleep 1
	s_clause 0x1
	global_load_dwordx2 v[5:6], v4, s[26:27] offset:40
	global_load_dwordx2 v[9:10], v4, s[26:27]
	v_mov_b32_e32 v8, v1
	v_mov_b32_e32 v7, v0
	s_waitcnt vmcnt(1)
	v_and_b32_e32 v0, v5, v7
	v_and_b32_e32 v5, v6, v8
	s_waitcnt vmcnt(0)
	v_mad_u64_u32 v[0:1], null, v0, 24, v[9:10]
	v_mad_u64_u32 v[5:6], null, v5, 24, v[1:2]
	v_mov_b32_e32 v1, v5
	global_load_dwordx2 v[5:6], v[0:1], off glc dlc
	s_waitcnt vmcnt(0)
	global_atomic_cmpswap_x2 v[0:1], v4, v[5:8], s[26:27] offset:24 glc
	s_waitcnt vmcnt(0)
	buffer_gl1_inv
	buffer_gl0_inv
	v_cmp_eq_u64_e32 vcc_lo, v[0:1], v[7:8]
	s_or_b32 s7, vcc_lo, s7
	s_andn2_b32 exec_lo, exec_lo, s7
	s_cbranch_execnz .LBB4_801
; %bb.802:
	s_or_b32 exec_lo, exec_lo, s7
.LBB4_803:
	s_or_b32 exec_lo, exec_lo, s6
.LBB4_804:
	s_or_b32 exec_lo, exec_lo, s5
	v_mov_b32_e32 v5, 0
	v_readfirstlane_b32 s6, v0
	v_readfirstlane_b32 s7, v1
	s_mov_b32 s5, exec_lo
	s_clause 0x1
	global_load_dwordx2 v[10:11], v5, s[26:27] offset:40
	global_load_dwordx4 v[6:9], v5, s[26:27]
	s_waitcnt vmcnt(1)
	v_readfirstlane_b32 s10, v10
	v_readfirstlane_b32 s11, v11
	s_and_b64 s[10:11], s[6:7], s[10:11]
	s_mul_i32 s16, s11, 24
	s_mul_hi_u32 s17, s10, 24
	s_mul_i32 s18, s10, 24
	s_add_i32 s17, s17, s16
	s_waitcnt vmcnt(0)
	v_add_co_u32 v10, vcc_lo, v6, s18
	v_add_co_ci_u32_e32 v11, vcc_lo, s17, v7, vcc_lo
	s_and_saveexec_b32 s16, s4
	s_cbranch_execz .LBB4_806
; %bb.805:
	v_mov_b32_e32 v4, s5
	v_mov_b32_e32 v13, v5
	;; [unrolled: 1-line block ×5, first 2 shown]
	global_store_dwordx4 v[10:11], v[12:15], off offset:8
.LBB4_806:
	s_or_b32 exec_lo, exec_lo, s16
	s_lshl_b64 s[10:11], s[10:11], 12
	s_mov_b32 s16, 0
	v_add_co_u32 v0, vcc_lo, v8, s10
	v_add_co_ci_u32_e32 v1, vcc_lo, s11, v9, vcc_lo
	s_mov_b32 s17, s16
	s_mov_b32 s18, s16
	s_mov_b32 s19, s16
	v_and_or_b32 v2, 0xffffff1d, v2, 34
	v_mov_b32_e32 v4, 58
	v_readfirstlane_b32 s10, v0
	v_readfirstlane_b32 s11, v1
	v_mov_b32_e32 v12, s16
	v_mov_b32_e32 v13, s17
	v_mov_b32_e32 v14, s18
	v_mov_b32_e32 v15, s19
	global_store_dwordx4 v39, v[2:5], s[10:11]
	global_store_dwordx4 v39, v[12:15], s[10:11] offset:16
	global_store_dwordx4 v39, v[12:15], s[10:11] offset:32
	;; [unrolled: 1-line block ×3, first 2 shown]
	s_and_saveexec_b32 s5, s4
	s_cbranch_execz .LBB4_814
; %bb.807:
	v_mov_b32_e32 v8, 0
	v_mov_b32_e32 v12, s6
	;; [unrolled: 1-line block ×3, first 2 shown]
	s_clause 0x1
	global_load_dwordx2 v[14:15], v8, s[26:27] offset:32 glc dlc
	global_load_dwordx2 v[0:1], v8, s[26:27] offset:40
	s_waitcnt vmcnt(0)
	v_readfirstlane_b32 s10, v0
	v_readfirstlane_b32 s11, v1
	s_and_b64 s[10:11], s[10:11], s[6:7]
	s_mul_i32 s11, s11, 24
	s_mul_hi_u32 s16, s10, 24
	s_mul_i32 s10, s10, 24
	s_add_i32 s16, s16, s11
	v_add_co_u32 v4, vcc_lo, v6, s10
	v_add_co_ci_u32_e32 v5, vcc_lo, s16, v7, vcc_lo
	s_mov_b32 s10, exec_lo
	global_store_dwordx2 v[4:5], v[14:15], off
	s_waitcnt_vscnt null, 0x0
	global_atomic_cmpswap_x2 v[2:3], v8, v[12:15], s[26:27] offset:32 glc
	s_waitcnt vmcnt(0)
	v_cmpx_ne_u64_e64 v[2:3], v[14:15]
	s_cbranch_execz .LBB4_810
; %bb.808:
	s_mov_b32 s11, 0
.LBB4_809:                              ; =>This Inner Loop Header: Depth=1
	v_mov_b32_e32 v0, s6
	v_mov_b32_e32 v1, s7
	s_sleep 1
	global_store_dwordx2 v[4:5], v[2:3], off
	s_waitcnt_vscnt null, 0x0
	global_atomic_cmpswap_x2 v[0:1], v8, v[0:3], s[26:27] offset:32 glc
	s_waitcnt vmcnt(0)
	v_cmp_eq_u64_e32 vcc_lo, v[0:1], v[2:3]
	v_mov_b32_e32 v3, v1
	v_mov_b32_e32 v2, v0
	s_or_b32 s11, vcc_lo, s11
	s_andn2_b32 exec_lo, exec_lo, s11
	s_cbranch_execnz .LBB4_809
.LBB4_810:
	s_or_b32 exec_lo, exec_lo, s10
	v_mov_b32_e32 v3, 0
	s_mov_b32 s11, exec_lo
	s_mov_b32 s10, exec_lo
	v_mbcnt_lo_u32_b32 v2, s11, 0
	global_load_dwordx2 v[0:1], v3, s[26:27] offset:16
	v_cmpx_eq_u32_e32 0, v2
	s_cbranch_execz .LBB4_812
; %bb.811:
	s_bcnt1_i32_b32 s11, s11
	v_mov_b32_e32 v2, s11
	s_waitcnt vmcnt(0)
	global_atomic_add_x2 v[0:1], v[2:3], off offset:8
.LBB4_812:
	s_or_b32 exec_lo, exec_lo, s10
	s_waitcnt vmcnt(0)
	global_load_dwordx2 v[2:3], v[0:1], off offset:16
	s_waitcnt vmcnt(0)
	v_cmp_eq_u64_e32 vcc_lo, 0, v[2:3]
	s_cbranch_vccnz .LBB4_814
; %bb.813:
	global_load_dword v0, v[0:1], off offset:24
	v_mov_b32_e32 v1, 0
	s_waitcnt vmcnt(0)
	v_and_b32_e32 v4, 0x7fffff, v0
	s_waitcnt_vscnt null, 0x0
	global_store_dwordx2 v[2:3], v[0:1], off
	v_readfirstlane_b32 m0, v4
	s_sendmsg sendmsg(MSG_INTERRUPT)
.LBB4_814:
	s_or_b32 exec_lo, exec_lo, s5
	s_branch .LBB4_818
	.p2align	6
.LBB4_815:                              ;   in Loop: Header=BB4_818 Depth=1
	s_or_b32 exec_lo, exec_lo, s5
	v_readfirstlane_b32 s5, v0
	s_cmp_eq_u32 s5, 0
	s_cbranch_scc1 .LBB4_817
; %bb.816:                              ;   in Loop: Header=BB4_818 Depth=1
	s_sleep 1
	s_cbranch_execnz .LBB4_818
	s_branch .LBB4_820
	.p2align	6
.LBB4_817:
	s_branch .LBB4_820
.LBB4_818:                              ; =>This Inner Loop Header: Depth=1
	v_mov_b32_e32 v0, 1
	s_and_saveexec_b32 s5, s4
	s_cbranch_execz .LBB4_815
; %bb.819:                              ;   in Loop: Header=BB4_818 Depth=1
	global_load_dword v0, v[10:11], off offset:20 glc dlc
	s_waitcnt vmcnt(0)
	buffer_gl1_inv
	buffer_gl0_inv
	v_and_b32_e32 v0, 1, v0
	s_branch .LBB4_815
.LBB4_820:
	s_and_saveexec_b32 s5, s4
	s_cbranch_execz .LBB4_824
; %bb.821:
	v_mov_b32_e32 v6, 0
	s_clause 0x2
	global_load_dwordx2 v[2:3], v6, s[26:27] offset:40
	global_load_dwordx2 v[7:8], v6, s[26:27] offset:24 glc dlc
	global_load_dwordx2 v[4:5], v6, s[26:27]
	s_waitcnt vmcnt(2)
	v_add_co_u32 v9, vcc_lo, v2, 1
	v_add_co_ci_u32_e32 v10, vcc_lo, 0, v3, vcc_lo
	v_add_co_u32 v0, vcc_lo, v9, s6
	v_add_co_ci_u32_e32 v1, vcc_lo, s7, v10, vcc_lo
	v_cmp_eq_u64_e32 vcc_lo, 0, v[0:1]
	v_cndmask_b32_e32 v1, v1, v10, vcc_lo
	v_cndmask_b32_e32 v0, v0, v9, vcc_lo
	v_and_b32_e32 v3, v1, v3
	v_and_b32_e32 v2, v0, v2
	v_mul_lo_u32 v3, v3, 24
	v_mul_hi_u32 v9, v2, 24
	v_mul_lo_u32 v2, v2, 24
	v_add_nc_u32_e32 v3, v9, v3
	s_waitcnt vmcnt(0)
	v_add_co_u32 v4, vcc_lo, v4, v2
	v_mov_b32_e32 v2, v7
	v_add_co_ci_u32_e32 v5, vcc_lo, v5, v3, vcc_lo
	v_mov_b32_e32 v3, v8
	global_store_dwordx2 v[4:5], v[7:8], off
	s_waitcnt_vscnt null, 0x0
	global_atomic_cmpswap_x2 v[2:3], v6, v[0:3], s[26:27] offset:24 glc
	s_waitcnt vmcnt(0)
	v_cmp_ne_u64_e32 vcc_lo, v[2:3], v[7:8]
	s_and_b32 exec_lo, exec_lo, vcc_lo
	s_cbranch_execz .LBB4_824
; %bb.822:
	s_mov_b32 s4, 0
.LBB4_823:                              ; =>This Inner Loop Header: Depth=1
	s_sleep 1
	global_store_dwordx2 v[4:5], v[2:3], off
	s_waitcnt_vscnt null, 0x0
	global_atomic_cmpswap_x2 v[7:8], v6, v[0:3], s[26:27] offset:24 glc
	s_waitcnt vmcnt(0)
	v_cmp_eq_u64_e32 vcc_lo, v[7:8], v[2:3]
	v_mov_b32_e32 v2, v7
	v_mov_b32_e32 v3, v8
	s_or_b32 s4, vcc_lo, s4
	s_andn2_b32 exec_lo, exec_lo, s4
	s_cbranch_execnz .LBB4_823
.LBB4_824:
	s_or_b32 exec_lo, exec_lo, s5
	v_readfirstlane_b32 s4, v50
	v_mov_b32_e32 v6, 0
	v_mov_b32_e32 v7, 0
	v_cmp_eq_u32_e64 s4, s4, v50
	s_and_saveexec_b32 s5, s4
	s_cbranch_execz .LBB4_830
; %bb.825:
	v_mov_b32_e32 v0, 0
	s_mov_b32 s6, exec_lo
	global_load_dwordx2 v[3:4], v0, s[26:27] offset:24 glc dlc
	s_waitcnt vmcnt(0)
	buffer_gl1_inv
	buffer_gl0_inv
	s_clause 0x1
	global_load_dwordx2 v[1:2], v0, s[26:27] offset:40
	global_load_dwordx2 v[5:6], v0, s[26:27]
	s_waitcnt vmcnt(1)
	v_and_b32_e32 v2, v2, v4
	v_and_b32_e32 v1, v1, v3
	v_mul_lo_u32 v2, v2, 24
	v_mul_hi_u32 v7, v1, 24
	v_mul_lo_u32 v1, v1, 24
	v_add_nc_u32_e32 v2, v7, v2
	s_waitcnt vmcnt(0)
	v_add_co_u32 v1, vcc_lo, v5, v1
	v_add_co_ci_u32_e32 v2, vcc_lo, v6, v2, vcc_lo
	global_load_dwordx2 v[1:2], v[1:2], off glc dlc
	s_waitcnt vmcnt(0)
	global_atomic_cmpswap_x2 v[6:7], v0, v[1:4], s[26:27] offset:24 glc
	s_waitcnt vmcnt(0)
	buffer_gl1_inv
	buffer_gl0_inv
	v_cmpx_ne_u64_e64 v[6:7], v[3:4]
	s_cbranch_execz .LBB4_829
; %bb.826:
	s_mov_b32 s7, 0
	.p2align	6
.LBB4_827:                              ; =>This Inner Loop Header: Depth=1
	s_sleep 1
	s_clause 0x1
	global_load_dwordx2 v[1:2], v0, s[26:27] offset:40
	global_load_dwordx2 v[8:9], v0, s[26:27]
	v_mov_b32_e32 v3, v6
	v_mov_b32_e32 v4, v7
	s_waitcnt vmcnt(1)
	v_and_b32_e32 v1, v1, v3
	v_and_b32_e32 v2, v2, v4
	s_waitcnt vmcnt(0)
	v_mad_u64_u32 v[5:6], null, v1, 24, v[8:9]
	v_mov_b32_e32 v1, v6
	v_mad_u64_u32 v[1:2], null, v2, 24, v[1:2]
	v_mov_b32_e32 v6, v1
	global_load_dwordx2 v[1:2], v[5:6], off glc dlc
	s_waitcnt vmcnt(0)
	global_atomic_cmpswap_x2 v[6:7], v0, v[1:4], s[26:27] offset:24 glc
	s_waitcnt vmcnt(0)
	buffer_gl1_inv
	buffer_gl0_inv
	v_cmp_eq_u64_e32 vcc_lo, v[6:7], v[3:4]
	s_or_b32 s7, vcc_lo, s7
	s_andn2_b32 exec_lo, exec_lo, s7
	s_cbranch_execnz .LBB4_827
; %bb.828:
	s_or_b32 exec_lo, exec_lo, s7
.LBB4_829:
	s_or_b32 exec_lo, exec_lo, s6
.LBB4_830:
	s_or_b32 exec_lo, exec_lo, s5
	v_mov_b32_e32 v5, 0
	v_readfirstlane_b32 s6, v6
	v_readfirstlane_b32 s7, v7
	s_mov_b32 s5, exec_lo
	s_clause 0x1
	global_load_dwordx2 v[8:9], v5, s[26:27] offset:40
	global_load_dwordx4 v[0:3], v5, s[26:27]
	s_waitcnt vmcnt(1)
	v_readfirstlane_b32 s10, v8
	v_readfirstlane_b32 s11, v9
	s_and_b64 s[10:11], s[6:7], s[10:11]
	s_mul_i32 s16, s11, 24
	s_mul_hi_u32 s17, s10, 24
	s_mul_i32 s18, s10, 24
	s_add_i32 s17, s17, s16
	s_waitcnt vmcnt(0)
	v_add_co_u32 v8, vcc_lo, v0, s18
	v_add_co_ci_u32_e32 v9, vcc_lo, s17, v1, vcc_lo
	s_and_saveexec_b32 s16, s4
	s_cbranch_execz .LBB4_832
; %bb.831:
	v_mov_b32_e32 v4, s5
	v_mov_b32_e32 v6, 2
	;; [unrolled: 1-line block ×3, first 2 shown]
	global_store_dwordx4 v[8:9], v[4:7], off offset:8
.LBB4_832:
	s_or_b32 exec_lo, exec_lo, s16
	s_lshl_b64 s[10:11], s[10:11], 12
	s_mov_b32 s16, 0
	v_add_co_u32 v2, vcc_lo, v2, s10
	v_add_co_ci_u32_e32 v3, vcc_lo, s11, v3, vcc_lo
	s_mov_b32 s17, s16
	v_add_co_u32 v10, vcc_lo, v2, v39
	s_mov_b32 s18, s16
	s_mov_b32 s19, s16
	v_mov_b32_e32 v4, 33
	v_mov_b32_e32 v6, v5
	;; [unrolled: 1-line block ×3, first 2 shown]
	v_readfirstlane_b32 s10, v2
	v_readfirstlane_b32 s11, v3
	v_mov_b32_e32 v12, s16
	v_add_co_ci_u32_e32 v11, vcc_lo, 0, v3, vcc_lo
	v_mov_b32_e32 v13, s17
	v_mov_b32_e32 v14, s18
	;; [unrolled: 1-line block ×3, first 2 shown]
	global_store_dwordx4 v39, v[4:7], s[10:11]
	global_store_dwordx4 v39, v[12:15], s[10:11] offset:16
	global_store_dwordx4 v39, v[12:15], s[10:11] offset:32
	;; [unrolled: 1-line block ×3, first 2 shown]
	s_and_saveexec_b32 s5, s4
	s_cbranch_execz .LBB4_840
; %bb.833:
	v_mov_b32_e32 v6, 0
	v_mov_b32_e32 v12, s6
	;; [unrolled: 1-line block ×3, first 2 shown]
	s_clause 0x1
	global_load_dwordx2 v[14:15], v6, s[26:27] offset:32 glc dlc
	global_load_dwordx2 v[2:3], v6, s[26:27] offset:40
	s_waitcnt vmcnt(0)
	v_readfirstlane_b32 s10, v2
	v_readfirstlane_b32 s11, v3
	s_and_b64 s[10:11], s[10:11], s[6:7]
	s_mul_i32 s11, s11, 24
	s_mul_hi_u32 s16, s10, 24
	s_mul_i32 s10, s10, 24
	s_add_i32 s16, s16, s11
	v_add_co_u32 v4, vcc_lo, v0, s10
	v_add_co_ci_u32_e32 v5, vcc_lo, s16, v1, vcc_lo
	s_mov_b32 s10, exec_lo
	global_store_dwordx2 v[4:5], v[14:15], off
	s_waitcnt_vscnt null, 0x0
	global_atomic_cmpswap_x2 v[2:3], v6, v[12:15], s[26:27] offset:32 glc
	s_waitcnt vmcnt(0)
	v_cmpx_ne_u64_e64 v[2:3], v[14:15]
	s_cbranch_execz .LBB4_836
; %bb.834:
	s_mov_b32 s11, 0
.LBB4_835:                              ; =>This Inner Loop Header: Depth=1
	v_mov_b32_e32 v0, s6
	v_mov_b32_e32 v1, s7
	s_sleep 1
	global_store_dwordx2 v[4:5], v[2:3], off
	s_waitcnt_vscnt null, 0x0
	global_atomic_cmpswap_x2 v[0:1], v6, v[0:3], s[26:27] offset:32 glc
	s_waitcnt vmcnt(0)
	v_cmp_eq_u64_e32 vcc_lo, v[0:1], v[2:3]
	v_mov_b32_e32 v3, v1
	v_mov_b32_e32 v2, v0
	s_or_b32 s11, vcc_lo, s11
	s_andn2_b32 exec_lo, exec_lo, s11
	s_cbranch_execnz .LBB4_835
.LBB4_836:
	s_or_b32 exec_lo, exec_lo, s10
	v_mov_b32_e32 v3, 0
	s_mov_b32 s11, exec_lo
	s_mov_b32 s10, exec_lo
	v_mbcnt_lo_u32_b32 v2, s11, 0
	global_load_dwordx2 v[0:1], v3, s[26:27] offset:16
	v_cmpx_eq_u32_e32 0, v2
	s_cbranch_execz .LBB4_838
; %bb.837:
	s_bcnt1_i32_b32 s11, s11
	v_mov_b32_e32 v2, s11
	s_waitcnt vmcnt(0)
	global_atomic_add_x2 v[0:1], v[2:3], off offset:8
.LBB4_838:
	s_or_b32 exec_lo, exec_lo, s10
	s_waitcnt vmcnt(0)
	global_load_dwordx2 v[2:3], v[0:1], off offset:16
	s_waitcnt vmcnt(0)
	v_cmp_eq_u64_e32 vcc_lo, 0, v[2:3]
	s_cbranch_vccnz .LBB4_840
; %bb.839:
	global_load_dword v0, v[0:1], off offset:24
	v_mov_b32_e32 v1, 0
	s_waitcnt vmcnt(0)
	v_and_b32_e32 v4, 0x7fffff, v0
	s_waitcnt_vscnt null, 0x0
	global_store_dwordx2 v[2:3], v[0:1], off
	v_readfirstlane_b32 m0, v4
	s_sendmsg sendmsg(MSG_INTERRUPT)
.LBB4_840:
	s_or_b32 exec_lo, exec_lo, s5
	s_branch .LBB4_844
	.p2align	6
.LBB4_841:                              ;   in Loop: Header=BB4_844 Depth=1
	s_or_b32 exec_lo, exec_lo, s5
	v_readfirstlane_b32 s5, v0
	s_cmp_eq_u32 s5, 0
	s_cbranch_scc1 .LBB4_843
; %bb.842:                              ;   in Loop: Header=BB4_844 Depth=1
	s_sleep 1
	s_cbranch_execnz .LBB4_844
	s_branch .LBB4_846
	.p2align	6
.LBB4_843:
	s_branch .LBB4_846
.LBB4_844:                              ; =>This Inner Loop Header: Depth=1
	v_mov_b32_e32 v0, 1
	s_and_saveexec_b32 s5, s4
	s_cbranch_execz .LBB4_841
; %bb.845:                              ;   in Loop: Header=BB4_844 Depth=1
	global_load_dword v0, v[8:9], off offset:20 glc dlc
	s_waitcnt vmcnt(0)
	buffer_gl1_inv
	buffer_gl0_inv
	v_and_b32_e32 v0, 1, v0
	s_branch .LBB4_841
.LBB4_846:
	global_load_dwordx2 v[0:1], v[10:11], off
	s_and_saveexec_b32 s5, s4
	s_cbranch_execz .LBB4_850
; %bb.847:
	v_mov_b32_e32 v8, 0
	s_clause 0x2
	global_load_dwordx2 v[4:5], v8, s[26:27] offset:40
	global_load_dwordx2 v[9:10], v8, s[26:27] offset:24 glc dlc
	global_load_dwordx2 v[6:7], v8, s[26:27]
	s_waitcnt vmcnt(2)
	v_add_co_u32 v11, vcc_lo, v4, 1
	v_add_co_ci_u32_e32 v12, vcc_lo, 0, v5, vcc_lo
	v_add_co_u32 v2, vcc_lo, v11, s6
	v_add_co_ci_u32_e32 v3, vcc_lo, s7, v12, vcc_lo
	v_cmp_eq_u64_e32 vcc_lo, 0, v[2:3]
	v_cndmask_b32_e32 v3, v3, v12, vcc_lo
	v_cndmask_b32_e32 v2, v2, v11, vcc_lo
	v_and_b32_e32 v5, v3, v5
	v_and_b32_e32 v4, v2, v4
	v_mul_lo_u32 v5, v5, 24
	v_mul_hi_u32 v11, v4, 24
	v_mul_lo_u32 v4, v4, 24
	v_add_nc_u32_e32 v5, v11, v5
	s_waitcnt vmcnt(0)
	v_add_co_u32 v6, vcc_lo, v6, v4
	v_mov_b32_e32 v4, v9
	v_add_co_ci_u32_e32 v7, vcc_lo, v7, v5, vcc_lo
	v_mov_b32_e32 v5, v10
	global_store_dwordx2 v[6:7], v[9:10], off
	s_waitcnt_vscnt null, 0x0
	global_atomic_cmpswap_x2 v[4:5], v8, v[2:5], s[26:27] offset:24 glc
	s_waitcnt vmcnt(0)
	v_cmp_ne_u64_e32 vcc_lo, v[4:5], v[9:10]
	s_and_b32 exec_lo, exec_lo, vcc_lo
	s_cbranch_execz .LBB4_850
; %bb.848:
	s_mov_b32 s4, 0
.LBB4_849:                              ; =>This Inner Loop Header: Depth=1
	s_sleep 1
	global_store_dwordx2 v[6:7], v[4:5], off
	s_waitcnt_vscnt null, 0x0
	global_atomic_cmpswap_x2 v[9:10], v8, v[2:5], s[26:27] offset:24 glc
	s_waitcnt vmcnt(0)
	v_cmp_eq_u64_e32 vcc_lo, v[9:10], v[4:5]
	v_mov_b32_e32 v4, v9
	v_mov_b32_e32 v5, v10
	s_or_b32 s4, vcc_lo, s4
	s_andn2_b32 exec_lo, exec_lo, s4
	s_cbranch_execnz .LBB4_849
.LBB4_850:
	s_or_b32 exec_lo, exec_lo, s5
	s_getpc_b64 s[6:7]
	s_add_u32 s6, s6, .str.7@rel32@lo+4
	s_addc_u32 s7, s7, .str.7@rel32@hi+12
	s_cmp_lg_u64 s[6:7], 0
	s_cbranch_scc0 .LBB4_929
; %bb.851:
	s_waitcnt vmcnt(0)
	v_and_b32_e32 v31, 2, v0
	v_mov_b32_e32 v6, 0
	v_and_b32_e32 v2, -3, v0
	v_mov_b32_e32 v3, v1
	v_mov_b32_e32 v7, 2
	;; [unrolled: 1-line block ×3, first 2 shown]
	s_mov_b64 s[10:11], 4
	s_branch .LBB4_853
.LBB4_852:                              ;   in Loop: Header=BB4_853 Depth=1
	s_or_b32 exec_lo, exec_lo, s5
	s_sub_u32 s10, s10, s16
	s_subb_u32 s11, s11, s17
	s_add_u32 s6, s6, s16
	s_addc_u32 s7, s7, s17
	s_cmp_lg_u64 s[10:11], 0
	s_cbranch_scc0 .LBB4_928
.LBB4_853:                              ; =>This Loop Header: Depth=1
                                        ;     Child Loop BB4_862 Depth 2
                                        ;     Child Loop BB4_858 Depth 2
	;; [unrolled: 1-line block ×11, first 2 shown]
	v_cmp_lt_u64_e64 s4, s[10:11], 56
	v_cmp_gt_u64_e64 s5, s[10:11], 7
                                        ; implicit-def: $vgpr11_vgpr12
                                        ; implicit-def: $sgpr22
	s_and_b32 s4, s4, exec_lo
	s_cselect_b32 s17, s11, 0
	s_cselect_b32 s16, s10, 56
	s_and_b32 vcc_lo, exec_lo, s5
	s_mov_b32 s4, -1
	s_cbranch_vccz .LBB4_860
; %bb.854:                              ;   in Loop: Header=BB4_853 Depth=1
	s_andn2_b32 vcc_lo, exec_lo, s4
	s_mov_b64 s[4:5], s[6:7]
	s_cbranch_vccz .LBB4_864
.LBB4_855:                              ;   in Loop: Header=BB4_853 Depth=1
	s_cmp_gt_u32 s22, 7
	s_cbranch_scc1 .LBB4_865
.LBB4_856:                              ;   in Loop: Header=BB4_853 Depth=1
	v_mov_b32_e32 v13, 0
	v_mov_b32_e32 v14, 0
	s_cmp_eq_u32 s22, 0
	s_cbranch_scc1 .LBB4_859
; %bb.857:                              ;   in Loop: Header=BB4_853 Depth=1
	s_mov_b64 s[18:19], 0
	s_mov_b64 s[20:21], 0
.LBB4_858:                              ;   Parent Loop BB4_853 Depth=1
                                        ; =>  This Inner Loop Header: Depth=2
	s_add_u32 s24, s4, s20
	s_addc_u32 s25, s5, s21
	s_add_u32 s20, s20, 1
	global_load_ubyte v4, v6, s[24:25]
	s_addc_u32 s21, s21, 0
	s_waitcnt vmcnt(0)
	v_and_b32_e32 v5, 0xffff, v4
	v_lshlrev_b64 v[4:5], s18, v[5:6]
	s_add_u32 s18, s18, 8
	s_addc_u32 s19, s19, 0
	s_cmp_lg_u32 s22, s20
	v_or_b32_e32 v13, v4, v13
	v_or_b32_e32 v14, v5, v14
	s_cbranch_scc1 .LBB4_858
.LBB4_859:                              ;   in Loop: Header=BB4_853 Depth=1
	s_mov_b32 s23, 0
	s_cbranch_execz .LBB4_866
	s_branch .LBB4_867
.LBB4_860:                              ;   in Loop: Header=BB4_853 Depth=1
	v_mov_b32_e32 v11, 0
	v_mov_b32_e32 v12, 0
	s_cmp_eq_u64 s[10:11], 0
	s_mov_b64 s[4:5], 0
	s_cbranch_scc1 .LBB4_863
; %bb.861:                              ;   in Loop: Header=BB4_853 Depth=1
	v_mov_b32_e32 v11, 0
	v_mov_b32_e32 v12, 0
	s_lshl_b64 s[18:19], s[16:17], 3
	s_mov_b64 s[20:21], s[6:7]
.LBB4_862:                              ;   Parent Loop BB4_853 Depth=1
                                        ; =>  This Inner Loop Header: Depth=2
	global_load_ubyte v4, v6, s[20:21]
	s_waitcnt vmcnt(0)
	v_and_b32_e32 v5, 0xffff, v4
	v_lshlrev_b64 v[4:5], s4, v[5:6]
	s_add_u32 s4, s4, 8
	s_addc_u32 s5, s5, 0
	s_add_u32 s20, s20, 1
	s_addc_u32 s21, s21, 0
	s_cmp_lg_u32 s18, s4
	v_or_b32_e32 v11, v4, v11
	v_or_b32_e32 v12, v5, v12
	s_cbranch_scc1 .LBB4_862
.LBB4_863:                              ;   in Loop: Header=BB4_853 Depth=1
	s_mov_b32 s22, 0
	s_mov_b64 s[4:5], s[6:7]
	s_cbranch_execnz .LBB4_855
.LBB4_864:                              ;   in Loop: Header=BB4_853 Depth=1
	global_load_dwordx2 v[11:12], v6, s[6:7]
	s_add_i32 s22, s16, -8
	s_add_u32 s4, s6, 8
	s_addc_u32 s5, s7, 0
	s_cmp_gt_u32 s22, 7
	s_cbranch_scc0 .LBB4_856
.LBB4_865:                              ;   in Loop: Header=BB4_853 Depth=1
                                        ; implicit-def: $vgpr13_vgpr14
                                        ; implicit-def: $sgpr23
.LBB4_866:                              ;   in Loop: Header=BB4_853 Depth=1
	global_load_dwordx2 v[13:14], v6, s[4:5]
	s_add_i32 s23, s22, -8
	s_add_u32 s4, s4, 8
	s_addc_u32 s5, s5, 0
.LBB4_867:                              ;   in Loop: Header=BB4_853 Depth=1
	s_cmp_gt_u32 s23, 7
	s_cbranch_scc1 .LBB4_872
; %bb.868:                              ;   in Loop: Header=BB4_853 Depth=1
	v_mov_b32_e32 v15, 0
	v_mov_b32_e32 v16, 0
	s_cmp_eq_u32 s23, 0
	s_cbranch_scc1 .LBB4_871
; %bb.869:                              ;   in Loop: Header=BB4_853 Depth=1
	s_mov_b64 s[18:19], 0
	s_mov_b64 s[20:21], 0
.LBB4_870:                              ;   Parent Loop BB4_853 Depth=1
                                        ; =>  This Inner Loop Header: Depth=2
	s_add_u32 s24, s4, s20
	s_addc_u32 s25, s5, s21
	s_add_u32 s20, s20, 1
	global_load_ubyte v4, v6, s[24:25]
	s_addc_u32 s21, s21, 0
	s_waitcnt vmcnt(0)
	v_and_b32_e32 v5, 0xffff, v4
	v_lshlrev_b64 v[4:5], s18, v[5:6]
	s_add_u32 s18, s18, 8
	s_addc_u32 s19, s19, 0
	s_cmp_lg_u32 s23, s20
	v_or_b32_e32 v15, v4, v15
	v_or_b32_e32 v16, v5, v16
	s_cbranch_scc1 .LBB4_870
.LBB4_871:                              ;   in Loop: Header=BB4_853 Depth=1
	s_mov_b32 s22, 0
	s_cbranch_execz .LBB4_873
	s_branch .LBB4_874
.LBB4_872:                              ;   in Loop: Header=BB4_853 Depth=1
                                        ; implicit-def: $sgpr22
.LBB4_873:                              ;   in Loop: Header=BB4_853 Depth=1
	global_load_dwordx2 v[15:16], v6, s[4:5]
	s_add_i32 s22, s23, -8
	s_add_u32 s4, s4, 8
	s_addc_u32 s5, s5, 0
.LBB4_874:                              ;   in Loop: Header=BB4_853 Depth=1
	s_cmp_gt_u32 s22, 7
	s_cbranch_scc1 .LBB4_879
; %bb.875:                              ;   in Loop: Header=BB4_853 Depth=1
	v_mov_b32_e32 v17, 0
	v_mov_b32_e32 v18, 0
	s_cmp_eq_u32 s22, 0
	s_cbranch_scc1 .LBB4_878
; %bb.876:                              ;   in Loop: Header=BB4_853 Depth=1
	s_mov_b64 s[18:19], 0
	s_mov_b64 s[20:21], 0
.LBB4_877:                              ;   Parent Loop BB4_853 Depth=1
                                        ; =>  This Inner Loop Header: Depth=2
	s_add_u32 s24, s4, s20
	s_addc_u32 s25, s5, s21
	s_add_u32 s20, s20, 1
	global_load_ubyte v4, v6, s[24:25]
	s_addc_u32 s21, s21, 0
	s_waitcnt vmcnt(0)
	v_and_b32_e32 v5, 0xffff, v4
	v_lshlrev_b64 v[4:5], s18, v[5:6]
	s_add_u32 s18, s18, 8
	s_addc_u32 s19, s19, 0
	s_cmp_lg_u32 s22, s20
	v_or_b32_e32 v17, v4, v17
	v_or_b32_e32 v18, v5, v18
	s_cbranch_scc1 .LBB4_877
.LBB4_878:                              ;   in Loop: Header=BB4_853 Depth=1
	s_mov_b32 s23, 0
	s_cbranch_execz .LBB4_880
	s_branch .LBB4_881
.LBB4_879:                              ;   in Loop: Header=BB4_853 Depth=1
                                        ; implicit-def: $vgpr17_vgpr18
                                        ; implicit-def: $sgpr23
.LBB4_880:                              ;   in Loop: Header=BB4_853 Depth=1
	global_load_dwordx2 v[17:18], v6, s[4:5]
	s_add_i32 s23, s22, -8
	s_add_u32 s4, s4, 8
	s_addc_u32 s5, s5, 0
.LBB4_881:                              ;   in Loop: Header=BB4_853 Depth=1
	s_cmp_gt_u32 s23, 7
	s_cbranch_scc1 .LBB4_886
; %bb.882:                              ;   in Loop: Header=BB4_853 Depth=1
	v_mov_b32_e32 v19, 0
	v_mov_b32_e32 v20, 0
	s_cmp_eq_u32 s23, 0
	s_cbranch_scc1 .LBB4_885
; %bb.883:                              ;   in Loop: Header=BB4_853 Depth=1
	s_mov_b64 s[18:19], 0
	s_mov_b64 s[20:21], 0
.LBB4_884:                              ;   Parent Loop BB4_853 Depth=1
                                        ; =>  This Inner Loop Header: Depth=2
	s_add_u32 s24, s4, s20
	s_addc_u32 s25, s5, s21
	s_add_u32 s20, s20, 1
	global_load_ubyte v4, v6, s[24:25]
	s_addc_u32 s21, s21, 0
	s_waitcnt vmcnt(0)
	v_and_b32_e32 v5, 0xffff, v4
	v_lshlrev_b64 v[4:5], s18, v[5:6]
	s_add_u32 s18, s18, 8
	s_addc_u32 s19, s19, 0
	s_cmp_lg_u32 s23, s20
	v_or_b32_e32 v19, v4, v19
	v_or_b32_e32 v20, v5, v20
	s_cbranch_scc1 .LBB4_884
.LBB4_885:                              ;   in Loop: Header=BB4_853 Depth=1
	s_mov_b32 s22, 0
	s_cbranch_execz .LBB4_887
	s_branch .LBB4_888
.LBB4_886:                              ;   in Loop: Header=BB4_853 Depth=1
                                        ; implicit-def: $sgpr22
.LBB4_887:                              ;   in Loop: Header=BB4_853 Depth=1
	global_load_dwordx2 v[19:20], v6, s[4:5]
	s_add_i32 s22, s23, -8
	s_add_u32 s4, s4, 8
	s_addc_u32 s5, s5, 0
.LBB4_888:                              ;   in Loop: Header=BB4_853 Depth=1
	s_cmp_gt_u32 s22, 7
	s_cbranch_scc1 .LBB4_893
; %bb.889:                              ;   in Loop: Header=BB4_853 Depth=1
	v_mov_b32_e32 v21, 0
	v_mov_b32_e32 v22, 0
	s_cmp_eq_u32 s22, 0
	s_cbranch_scc1 .LBB4_892
; %bb.890:                              ;   in Loop: Header=BB4_853 Depth=1
	s_mov_b64 s[18:19], 0
	s_mov_b64 s[20:21], 0
.LBB4_891:                              ;   Parent Loop BB4_853 Depth=1
                                        ; =>  This Inner Loop Header: Depth=2
	s_add_u32 s24, s4, s20
	s_addc_u32 s25, s5, s21
	s_add_u32 s20, s20, 1
	global_load_ubyte v4, v6, s[24:25]
	s_addc_u32 s21, s21, 0
	s_waitcnt vmcnt(0)
	v_and_b32_e32 v5, 0xffff, v4
	v_lshlrev_b64 v[4:5], s18, v[5:6]
	s_add_u32 s18, s18, 8
	s_addc_u32 s19, s19, 0
	s_cmp_lg_u32 s22, s20
	v_or_b32_e32 v21, v4, v21
	v_or_b32_e32 v22, v5, v22
	s_cbranch_scc1 .LBB4_891
.LBB4_892:                              ;   in Loop: Header=BB4_853 Depth=1
	s_mov_b32 s23, 0
	s_cbranch_execz .LBB4_894
	s_branch .LBB4_895
.LBB4_893:                              ;   in Loop: Header=BB4_853 Depth=1
                                        ; implicit-def: $vgpr21_vgpr22
                                        ; implicit-def: $sgpr23
.LBB4_894:                              ;   in Loop: Header=BB4_853 Depth=1
	global_load_dwordx2 v[21:22], v6, s[4:5]
	s_add_i32 s23, s22, -8
	s_add_u32 s4, s4, 8
	s_addc_u32 s5, s5, 0
.LBB4_895:                              ;   in Loop: Header=BB4_853 Depth=1
	s_cmp_gt_u32 s23, 7
	s_cbranch_scc1 .LBB4_900
; %bb.896:                              ;   in Loop: Header=BB4_853 Depth=1
	v_mov_b32_e32 v23, 0
	v_mov_b32_e32 v24, 0
	s_cmp_eq_u32 s23, 0
	s_cbranch_scc1 .LBB4_899
; %bb.897:                              ;   in Loop: Header=BB4_853 Depth=1
	s_mov_b64 s[18:19], 0
	s_mov_b64 s[20:21], s[4:5]
.LBB4_898:                              ;   Parent Loop BB4_853 Depth=1
                                        ; =>  This Inner Loop Header: Depth=2
	global_load_ubyte v4, v6, s[20:21]
	s_add_i32 s23, s23, -1
	s_waitcnt vmcnt(0)
	v_and_b32_e32 v5, 0xffff, v4
	v_lshlrev_b64 v[4:5], s18, v[5:6]
	s_add_u32 s18, s18, 8
	s_addc_u32 s19, s19, 0
	s_add_u32 s20, s20, 1
	s_addc_u32 s21, s21, 0
	s_cmp_lg_u32 s23, 0
	v_or_b32_e32 v23, v4, v23
	v_or_b32_e32 v24, v5, v24
	s_cbranch_scc1 .LBB4_898
.LBB4_899:                              ;   in Loop: Header=BB4_853 Depth=1
	s_cbranch_execz .LBB4_901
	s_branch .LBB4_902
.LBB4_900:                              ;   in Loop: Header=BB4_853 Depth=1
.LBB4_901:                              ;   in Loop: Header=BB4_853 Depth=1
	global_load_dwordx2 v[23:24], v6, s[4:5]
.LBB4_902:                              ;   in Loop: Header=BB4_853 Depth=1
	v_readfirstlane_b32 s4, v50
	s_waitcnt vmcnt(0)
	v_mov_b32_e32 v4, 0
	v_mov_b32_e32 v5, 0
	v_cmp_eq_u32_e64 s4, s4, v50
	s_and_saveexec_b32 s5, s4
	s_cbranch_execz .LBB4_908
; %bb.903:                              ;   in Loop: Header=BB4_853 Depth=1
	global_load_dwordx2 v[27:28], v6, s[26:27] offset:24 glc dlc
	s_waitcnt vmcnt(0)
	buffer_gl1_inv
	buffer_gl0_inv
	s_clause 0x1
	global_load_dwordx2 v[4:5], v6, s[26:27] offset:40
	global_load_dwordx2 v[9:10], v6, s[26:27]
	s_mov_b32 s18, exec_lo
	s_waitcnt vmcnt(1)
	v_and_b32_e32 v5, v5, v28
	v_and_b32_e32 v4, v4, v27
	v_mul_lo_u32 v5, v5, 24
	v_mul_hi_u32 v25, v4, 24
	v_mul_lo_u32 v4, v4, 24
	v_add_nc_u32_e32 v5, v25, v5
	s_waitcnt vmcnt(0)
	v_add_co_u32 v4, vcc_lo, v9, v4
	v_add_co_ci_u32_e32 v5, vcc_lo, v10, v5, vcc_lo
	global_load_dwordx2 v[25:26], v[4:5], off glc dlc
	s_waitcnt vmcnt(0)
	global_atomic_cmpswap_x2 v[4:5], v6, v[25:28], s[26:27] offset:24 glc
	s_waitcnt vmcnt(0)
	buffer_gl1_inv
	buffer_gl0_inv
	v_cmpx_ne_u64_e64 v[4:5], v[27:28]
	s_cbranch_execz .LBB4_907
; %bb.904:                              ;   in Loop: Header=BB4_853 Depth=1
	s_mov_b32 s19, 0
	.p2align	6
.LBB4_905:                              ;   Parent Loop BB4_853 Depth=1
                                        ; =>  This Inner Loop Header: Depth=2
	s_sleep 1
	s_clause 0x1
	global_load_dwordx2 v[9:10], v6, s[26:27] offset:40
	global_load_dwordx2 v[25:26], v6, s[26:27]
	v_mov_b32_e32 v28, v5
	v_mov_b32_e32 v27, v4
	s_waitcnt vmcnt(1)
	v_and_b32_e32 v4, v9, v27
	v_and_b32_e32 v9, v10, v28
	s_waitcnt vmcnt(0)
	v_mad_u64_u32 v[4:5], null, v4, 24, v[25:26]
	v_mad_u64_u32 v[9:10], null, v9, 24, v[5:6]
	v_mov_b32_e32 v5, v9
	global_load_dwordx2 v[25:26], v[4:5], off glc dlc
	s_waitcnt vmcnt(0)
	global_atomic_cmpswap_x2 v[4:5], v6, v[25:28], s[26:27] offset:24 glc
	s_waitcnt vmcnt(0)
	buffer_gl1_inv
	buffer_gl0_inv
	v_cmp_eq_u64_e32 vcc_lo, v[4:5], v[27:28]
	s_or_b32 s19, vcc_lo, s19
	s_andn2_b32 exec_lo, exec_lo, s19
	s_cbranch_execnz .LBB4_905
; %bb.906:                              ;   in Loop: Header=BB4_853 Depth=1
	s_or_b32 exec_lo, exec_lo, s19
.LBB4_907:                              ;   in Loop: Header=BB4_853 Depth=1
	s_or_b32 exec_lo, exec_lo, s18
.LBB4_908:                              ;   in Loop: Header=BB4_853 Depth=1
	s_or_b32 exec_lo, exec_lo, s5
	s_clause 0x1
	global_load_dwordx2 v[9:10], v6, s[26:27] offset:40
	global_load_dwordx4 v[25:28], v6, s[26:27]
	v_readfirstlane_b32 s18, v4
	v_readfirstlane_b32 s19, v5
	s_mov_b32 s5, exec_lo
	s_waitcnt vmcnt(1)
	v_readfirstlane_b32 s20, v9
	v_readfirstlane_b32 s21, v10
	s_and_b64 s[20:21], s[18:19], s[20:21]
	s_mul_i32 s22, s21, 24
	s_mul_hi_u32 s23, s20, 24
	s_mul_i32 s24, s20, 24
	s_add_i32 s23, s23, s22
	s_waitcnt vmcnt(0)
	v_add_co_u32 v29, vcc_lo, v25, s24
	v_add_co_ci_u32_e32 v30, vcc_lo, s23, v26, vcc_lo
	s_and_saveexec_b32 s22, s4
	s_cbranch_execz .LBB4_910
; %bb.909:                              ;   in Loop: Header=BB4_853 Depth=1
	v_mov_b32_e32 v5, s5
	global_store_dwordx4 v[29:30], v[5:8], off offset:8
.LBB4_910:                              ;   in Loop: Header=BB4_853 Depth=1
	s_or_b32 exec_lo, exec_lo, s22
	s_lshl_b64 s[20:21], s[20:21], 12
	v_cmp_gt_u64_e64 vcc_lo, s[10:11], 56
	v_or_b32_e32 v5, v2, v31
	v_add_co_u32 v27, s5, v27, s20
	v_add_co_ci_u32_e64 v28, s5, s21, v28, s5
	s_lshl_b32 s5, s16, 2
	v_or_b32_e32 v4, 0, v3
	v_cndmask_b32_e32 v2, v5, v2, vcc_lo
	s_add_i32 s5, s5, 28
	v_readfirstlane_b32 s20, v27
	s_and_b32 s5, s5, 0x1e0
	v_cndmask_b32_e32 v10, v4, v3, vcc_lo
	v_readfirstlane_b32 s21, v28
	v_and_or_b32 v9, 0xffffff1f, v2, s5
	global_store_dwordx4 v39, v[9:12], s[20:21]
	global_store_dwordx4 v39, v[13:16], s[20:21] offset:16
	global_store_dwordx4 v39, v[17:20], s[20:21] offset:32
	;; [unrolled: 1-line block ×3, first 2 shown]
	s_and_saveexec_b32 s5, s4
	s_cbranch_execz .LBB4_918
; %bb.911:                              ;   in Loop: Header=BB4_853 Depth=1
	s_clause 0x1
	global_load_dwordx2 v[13:14], v6, s[26:27] offset:32 glc dlc
	global_load_dwordx2 v[2:3], v6, s[26:27] offset:40
	v_mov_b32_e32 v11, s18
	v_mov_b32_e32 v12, s19
	s_waitcnt vmcnt(0)
	v_readfirstlane_b32 s20, v2
	v_readfirstlane_b32 s21, v3
	s_and_b64 s[20:21], s[20:21], s[18:19]
	s_mul_i32 s21, s21, 24
	s_mul_hi_u32 s22, s20, 24
	s_mul_i32 s20, s20, 24
	s_add_i32 s22, s22, s21
	v_add_co_u32 v9, vcc_lo, v25, s20
	v_add_co_ci_u32_e32 v10, vcc_lo, s22, v26, vcc_lo
	s_mov_b32 s20, exec_lo
	global_store_dwordx2 v[9:10], v[13:14], off
	s_waitcnt_vscnt null, 0x0
	global_atomic_cmpswap_x2 v[4:5], v6, v[11:14], s[26:27] offset:32 glc
	s_waitcnt vmcnt(0)
	v_cmpx_ne_u64_e64 v[4:5], v[13:14]
	s_cbranch_execz .LBB4_914
; %bb.912:                              ;   in Loop: Header=BB4_853 Depth=1
	s_mov_b32 s21, 0
.LBB4_913:                              ;   Parent Loop BB4_853 Depth=1
                                        ; =>  This Inner Loop Header: Depth=2
	v_mov_b32_e32 v2, s18
	v_mov_b32_e32 v3, s19
	s_sleep 1
	global_store_dwordx2 v[9:10], v[4:5], off
	s_waitcnt_vscnt null, 0x0
	global_atomic_cmpswap_x2 v[2:3], v6, v[2:5], s[26:27] offset:32 glc
	s_waitcnt vmcnt(0)
	v_cmp_eq_u64_e32 vcc_lo, v[2:3], v[4:5]
	v_mov_b32_e32 v5, v3
	v_mov_b32_e32 v4, v2
	s_or_b32 s21, vcc_lo, s21
	s_andn2_b32 exec_lo, exec_lo, s21
	s_cbranch_execnz .LBB4_913
.LBB4_914:                              ;   in Loop: Header=BB4_853 Depth=1
	s_or_b32 exec_lo, exec_lo, s20
	global_load_dwordx2 v[2:3], v6, s[26:27] offset:16
	s_mov_b32 s21, exec_lo
	s_mov_b32 s20, exec_lo
	v_mbcnt_lo_u32_b32 v4, s21, 0
	v_cmpx_eq_u32_e32 0, v4
	s_cbranch_execz .LBB4_916
; %bb.915:                              ;   in Loop: Header=BB4_853 Depth=1
	s_bcnt1_i32_b32 s21, s21
	v_mov_b32_e32 v5, s21
	s_waitcnt vmcnt(0)
	global_atomic_add_x2 v[2:3], v[5:6], off offset:8
.LBB4_916:                              ;   in Loop: Header=BB4_853 Depth=1
	s_or_b32 exec_lo, exec_lo, s20
	s_waitcnt vmcnt(0)
	global_load_dwordx2 v[9:10], v[2:3], off offset:16
	s_waitcnt vmcnt(0)
	v_cmp_eq_u64_e32 vcc_lo, 0, v[9:10]
	s_cbranch_vccnz .LBB4_918
; %bb.917:                              ;   in Loop: Header=BB4_853 Depth=1
	global_load_dword v5, v[2:3], off offset:24
	s_waitcnt vmcnt(0)
	v_and_b32_e32 v2, 0x7fffff, v5
	s_waitcnt_vscnt null, 0x0
	global_store_dwordx2 v[9:10], v[5:6], off
	v_readfirstlane_b32 m0, v2
	s_sendmsg sendmsg(MSG_INTERRUPT)
.LBB4_918:                              ;   in Loop: Header=BB4_853 Depth=1
	s_or_b32 exec_lo, exec_lo, s5
	v_add_co_u32 v2, vcc_lo, v27, v39
	v_add_co_ci_u32_e32 v3, vcc_lo, 0, v28, vcc_lo
	s_branch .LBB4_922
	.p2align	6
.LBB4_919:                              ;   in Loop: Header=BB4_922 Depth=2
	s_or_b32 exec_lo, exec_lo, s5
	v_readfirstlane_b32 s5, v4
	s_cmp_eq_u32 s5, 0
	s_cbranch_scc1 .LBB4_921
; %bb.920:                              ;   in Loop: Header=BB4_922 Depth=2
	s_sleep 1
	s_cbranch_execnz .LBB4_922
	s_branch .LBB4_924
	.p2align	6
.LBB4_921:                              ;   in Loop: Header=BB4_853 Depth=1
	s_branch .LBB4_924
.LBB4_922:                              ;   Parent Loop BB4_853 Depth=1
                                        ; =>  This Inner Loop Header: Depth=2
	v_mov_b32_e32 v4, 1
	s_and_saveexec_b32 s5, s4
	s_cbranch_execz .LBB4_919
; %bb.923:                              ;   in Loop: Header=BB4_922 Depth=2
	global_load_dword v4, v[29:30], off offset:20 glc dlc
	s_waitcnt vmcnt(0)
	buffer_gl1_inv
	buffer_gl0_inv
	v_and_b32_e32 v4, 1, v4
	s_branch .LBB4_919
.LBB4_924:                              ;   in Loop: Header=BB4_853 Depth=1
	global_load_dwordx4 v[2:5], v[2:3], off
	s_and_saveexec_b32 s5, s4
	s_cbranch_execz .LBB4_852
; %bb.925:                              ;   in Loop: Header=BB4_853 Depth=1
	s_clause 0x2
	global_load_dwordx2 v[4:5], v6, s[26:27] offset:40
	global_load_dwordx2 v[13:14], v6, s[26:27] offset:24 glc dlc
	global_load_dwordx2 v[11:12], v6, s[26:27]
	s_waitcnt vmcnt(2)
	v_add_co_u32 v15, vcc_lo, v4, 1
	v_add_co_ci_u32_e32 v16, vcc_lo, 0, v5, vcc_lo
	v_add_co_u32 v9, vcc_lo, v15, s18
	v_add_co_ci_u32_e32 v10, vcc_lo, s19, v16, vcc_lo
	v_cmp_eq_u64_e32 vcc_lo, 0, v[9:10]
	v_cndmask_b32_e32 v10, v10, v16, vcc_lo
	v_cndmask_b32_e32 v9, v9, v15, vcc_lo
	v_and_b32_e32 v5, v10, v5
	v_and_b32_e32 v4, v9, v4
	v_mul_lo_u32 v5, v5, 24
	v_mul_hi_u32 v15, v4, 24
	v_mul_lo_u32 v4, v4, 24
	v_add_nc_u32_e32 v5, v15, v5
	s_waitcnt vmcnt(0)
	v_add_co_u32 v4, vcc_lo, v11, v4
	v_mov_b32_e32 v11, v13
	v_add_co_ci_u32_e32 v5, vcc_lo, v12, v5, vcc_lo
	v_mov_b32_e32 v12, v14
	global_store_dwordx2 v[4:5], v[13:14], off
	s_waitcnt_vscnt null, 0x0
	global_atomic_cmpswap_x2 v[11:12], v6, v[9:12], s[26:27] offset:24 glc
	s_waitcnt vmcnt(0)
	v_cmp_ne_u64_e32 vcc_lo, v[11:12], v[13:14]
	s_and_b32 exec_lo, exec_lo, vcc_lo
	s_cbranch_execz .LBB4_852
; %bb.926:                              ;   in Loop: Header=BB4_853 Depth=1
	s_mov_b32 s4, 0
.LBB4_927:                              ;   Parent Loop BB4_853 Depth=1
                                        ; =>  This Inner Loop Header: Depth=2
	s_sleep 1
	global_store_dwordx2 v[4:5], v[11:12], off
	s_waitcnt_vscnt null, 0x0
	global_atomic_cmpswap_x2 v[13:14], v6, v[9:12], s[26:27] offset:24 glc
	s_waitcnt vmcnt(0)
	v_cmp_eq_u64_e32 vcc_lo, v[13:14], v[11:12]
	v_mov_b32_e32 v11, v13
	v_mov_b32_e32 v12, v14
	s_or_b32 s4, vcc_lo, s4
	s_andn2_b32 exec_lo, exec_lo, s4
	s_cbranch_execnz .LBB4_927
	s_branch .LBB4_852
.LBB4_928:
	s_branch .LBB4_957
.LBB4_929:
                                        ; implicit-def: $vgpr2_vgpr3
	s_cbranch_execz .LBB4_957
; %bb.930:
	v_readfirstlane_b32 s4, v50
	v_mov_b32_e32 v8, 0
	v_mov_b32_e32 v9, 0
	v_cmp_eq_u32_e64 s4, s4, v50
	s_and_saveexec_b32 s5, s4
	s_cbranch_execz .LBB4_936
; %bb.931:
	s_waitcnt vmcnt(0)
	v_mov_b32_e32 v2, 0
	s_mov_b32 s6, exec_lo
	global_load_dwordx2 v[5:6], v2, s[26:27] offset:24 glc dlc
	s_waitcnt vmcnt(0)
	buffer_gl1_inv
	buffer_gl0_inv
	s_clause 0x1
	global_load_dwordx2 v[3:4], v2, s[26:27] offset:40
	global_load_dwordx2 v[7:8], v2, s[26:27]
	s_waitcnt vmcnt(1)
	v_and_b32_e32 v4, v4, v6
	v_and_b32_e32 v3, v3, v5
	v_mul_lo_u32 v4, v4, 24
	v_mul_hi_u32 v9, v3, 24
	v_mul_lo_u32 v3, v3, 24
	v_add_nc_u32_e32 v4, v9, v4
	s_waitcnt vmcnt(0)
	v_add_co_u32 v3, vcc_lo, v7, v3
	v_add_co_ci_u32_e32 v4, vcc_lo, v8, v4, vcc_lo
	global_load_dwordx2 v[3:4], v[3:4], off glc dlc
	s_waitcnt vmcnt(0)
	global_atomic_cmpswap_x2 v[8:9], v2, v[3:6], s[26:27] offset:24 glc
	s_waitcnt vmcnt(0)
	buffer_gl1_inv
	buffer_gl0_inv
	v_cmpx_ne_u64_e64 v[8:9], v[5:6]
	s_cbranch_execz .LBB4_935
; %bb.932:
	s_mov_b32 s7, 0
	.p2align	6
.LBB4_933:                              ; =>This Inner Loop Header: Depth=1
	s_sleep 1
	s_clause 0x1
	global_load_dwordx2 v[3:4], v2, s[26:27] offset:40
	global_load_dwordx2 v[10:11], v2, s[26:27]
	v_mov_b32_e32 v5, v8
	v_mov_b32_e32 v6, v9
	s_waitcnt vmcnt(1)
	v_and_b32_e32 v3, v3, v5
	v_and_b32_e32 v4, v4, v6
	s_waitcnt vmcnt(0)
	v_mad_u64_u32 v[7:8], null, v3, 24, v[10:11]
	v_mov_b32_e32 v3, v8
	v_mad_u64_u32 v[3:4], null, v4, 24, v[3:4]
	v_mov_b32_e32 v8, v3
	global_load_dwordx2 v[3:4], v[7:8], off glc dlc
	s_waitcnt vmcnt(0)
	global_atomic_cmpswap_x2 v[8:9], v2, v[3:6], s[26:27] offset:24 glc
	s_waitcnt vmcnt(0)
	buffer_gl1_inv
	buffer_gl0_inv
	v_cmp_eq_u64_e32 vcc_lo, v[8:9], v[5:6]
	s_or_b32 s7, vcc_lo, s7
	s_andn2_b32 exec_lo, exec_lo, s7
	s_cbranch_execnz .LBB4_933
; %bb.934:
	s_or_b32 exec_lo, exec_lo, s7
.LBB4_935:
	s_or_b32 exec_lo, exec_lo, s6
.LBB4_936:
	s_or_b32 exec_lo, exec_lo, s5
	s_waitcnt vmcnt(0)
	v_mov_b32_e32 v2, 0
	v_readfirstlane_b32 s6, v8
	v_readfirstlane_b32 s7, v9
	s_mov_b32 s5, exec_lo
	s_clause 0x1
	global_load_dwordx2 v[10:11], v2, s[26:27] offset:40
	global_load_dwordx4 v[4:7], v2, s[26:27]
	s_waitcnt vmcnt(1)
	v_readfirstlane_b32 s10, v10
	v_readfirstlane_b32 s11, v11
	s_and_b64 s[10:11], s[6:7], s[10:11]
	s_mul_i32 s16, s11, 24
	s_mul_hi_u32 s17, s10, 24
	s_mul_i32 s18, s10, 24
	s_add_i32 s17, s17, s16
	s_waitcnt vmcnt(0)
	v_add_co_u32 v8, vcc_lo, v4, s18
	v_add_co_ci_u32_e32 v9, vcc_lo, s17, v5, vcc_lo
	s_and_saveexec_b32 s16, s4
	s_cbranch_execz .LBB4_938
; %bb.937:
	v_mov_b32_e32 v10, s5
	v_mov_b32_e32 v11, v2
	;; [unrolled: 1-line block ×4, first 2 shown]
	global_store_dwordx4 v[8:9], v[10:13], off offset:8
.LBB4_938:
	s_or_b32 exec_lo, exec_lo, s16
	s_lshl_b64 s[10:11], s[10:11], 12
	s_mov_b32 s16, 0
	v_add_co_u32 v6, vcc_lo, v6, s10
	v_add_co_ci_u32_e32 v7, vcc_lo, s11, v7, vcc_lo
	s_mov_b32 s17, s16
	v_readfirstlane_b32 s10, v6
	v_add_co_u32 v6, vcc_lo, v6, v39
	s_mov_b32 s18, s16
	s_mov_b32 s19, s16
	v_and_or_b32 v0, 0xffffff1f, v0, 32
	v_mov_b32_e32 v3, v2
	v_readfirstlane_b32 s11, v7
	v_mov_b32_e32 v10, s16
	v_add_co_ci_u32_e32 v7, vcc_lo, 0, v7, vcc_lo
	v_mov_b32_e32 v11, s17
	v_mov_b32_e32 v12, s18
	;; [unrolled: 1-line block ×3, first 2 shown]
	global_store_dwordx4 v39, v[0:3], s[10:11]
	global_store_dwordx4 v39, v[10:13], s[10:11] offset:16
	global_store_dwordx4 v39, v[10:13], s[10:11] offset:32
	;; [unrolled: 1-line block ×3, first 2 shown]
	s_and_saveexec_b32 s5, s4
	s_cbranch_execz .LBB4_946
; %bb.939:
	v_mov_b32_e32 v10, 0
	v_mov_b32_e32 v11, s6
	;; [unrolled: 1-line block ×3, first 2 shown]
	s_clause 0x1
	global_load_dwordx2 v[13:14], v10, s[26:27] offset:32 glc dlc
	global_load_dwordx2 v[0:1], v10, s[26:27] offset:40
	s_waitcnt vmcnt(0)
	v_readfirstlane_b32 s10, v0
	v_readfirstlane_b32 s11, v1
	s_and_b64 s[10:11], s[10:11], s[6:7]
	s_mul_i32 s11, s11, 24
	s_mul_hi_u32 s16, s10, 24
	s_mul_i32 s10, s10, 24
	s_add_i32 s16, s16, s11
	v_add_co_u32 v4, vcc_lo, v4, s10
	v_add_co_ci_u32_e32 v5, vcc_lo, s16, v5, vcc_lo
	s_mov_b32 s10, exec_lo
	global_store_dwordx2 v[4:5], v[13:14], off
	s_waitcnt_vscnt null, 0x0
	global_atomic_cmpswap_x2 v[2:3], v10, v[11:14], s[26:27] offset:32 glc
	s_waitcnt vmcnt(0)
	v_cmpx_ne_u64_e64 v[2:3], v[13:14]
	s_cbranch_execz .LBB4_942
; %bb.940:
	s_mov_b32 s11, 0
.LBB4_941:                              ; =>This Inner Loop Header: Depth=1
	v_mov_b32_e32 v0, s6
	v_mov_b32_e32 v1, s7
	s_sleep 1
	global_store_dwordx2 v[4:5], v[2:3], off
	s_waitcnt_vscnt null, 0x0
	global_atomic_cmpswap_x2 v[0:1], v10, v[0:3], s[26:27] offset:32 glc
	s_waitcnt vmcnt(0)
	v_cmp_eq_u64_e32 vcc_lo, v[0:1], v[2:3]
	v_mov_b32_e32 v3, v1
	v_mov_b32_e32 v2, v0
	s_or_b32 s11, vcc_lo, s11
	s_andn2_b32 exec_lo, exec_lo, s11
	s_cbranch_execnz .LBB4_941
.LBB4_942:
	s_or_b32 exec_lo, exec_lo, s10
	v_mov_b32_e32 v3, 0
	s_mov_b32 s11, exec_lo
	s_mov_b32 s10, exec_lo
	v_mbcnt_lo_u32_b32 v2, s11, 0
	global_load_dwordx2 v[0:1], v3, s[26:27] offset:16
	v_cmpx_eq_u32_e32 0, v2
	s_cbranch_execz .LBB4_944
; %bb.943:
	s_bcnt1_i32_b32 s11, s11
	v_mov_b32_e32 v2, s11
	s_waitcnt vmcnt(0)
	global_atomic_add_x2 v[0:1], v[2:3], off offset:8
.LBB4_944:
	s_or_b32 exec_lo, exec_lo, s10
	s_waitcnt vmcnt(0)
	global_load_dwordx2 v[2:3], v[0:1], off offset:16
	s_waitcnt vmcnt(0)
	v_cmp_eq_u64_e32 vcc_lo, 0, v[2:3]
	s_cbranch_vccnz .LBB4_946
; %bb.945:
	global_load_dword v0, v[0:1], off offset:24
	v_mov_b32_e32 v1, 0
	s_waitcnt vmcnt(0)
	v_and_b32_e32 v4, 0x7fffff, v0
	s_waitcnt_vscnt null, 0x0
	global_store_dwordx2 v[2:3], v[0:1], off
	v_readfirstlane_b32 m0, v4
	s_sendmsg sendmsg(MSG_INTERRUPT)
.LBB4_946:
	s_or_b32 exec_lo, exec_lo, s5
	s_branch .LBB4_950
	.p2align	6
.LBB4_947:                              ;   in Loop: Header=BB4_950 Depth=1
	s_or_b32 exec_lo, exec_lo, s5
	v_readfirstlane_b32 s5, v0
	s_cmp_eq_u32 s5, 0
	s_cbranch_scc1 .LBB4_949
; %bb.948:                              ;   in Loop: Header=BB4_950 Depth=1
	s_sleep 1
	s_cbranch_execnz .LBB4_950
	s_branch .LBB4_952
	.p2align	6
.LBB4_949:
	s_branch .LBB4_952
.LBB4_950:                              ; =>This Inner Loop Header: Depth=1
	v_mov_b32_e32 v0, 1
	s_and_saveexec_b32 s5, s4
	s_cbranch_execz .LBB4_947
; %bb.951:                              ;   in Loop: Header=BB4_950 Depth=1
	global_load_dword v0, v[8:9], off offset:20 glc dlc
	s_waitcnt vmcnt(0)
	buffer_gl1_inv
	buffer_gl0_inv
	v_and_b32_e32 v0, 1, v0
	s_branch .LBB4_947
.LBB4_952:
	global_load_dwordx2 v[2:3], v[6:7], off
	s_and_saveexec_b32 s5, s4
	s_cbranch_execz .LBB4_956
; %bb.953:
	v_mov_b32_e32 v8, 0
	s_clause 0x2
	global_load_dwordx2 v[0:1], v8, s[26:27] offset:40
	global_load_dwordx2 v[9:10], v8, s[26:27] offset:24 glc dlc
	global_load_dwordx2 v[6:7], v8, s[26:27]
	s_waitcnt vmcnt(2)
	v_add_co_u32 v11, vcc_lo, v0, 1
	v_add_co_ci_u32_e32 v12, vcc_lo, 0, v1, vcc_lo
	v_add_co_u32 v4, vcc_lo, v11, s6
	v_add_co_ci_u32_e32 v5, vcc_lo, s7, v12, vcc_lo
	v_cmp_eq_u64_e32 vcc_lo, 0, v[4:5]
	v_cndmask_b32_e32 v5, v5, v12, vcc_lo
	v_cndmask_b32_e32 v4, v4, v11, vcc_lo
	v_and_b32_e32 v1, v5, v1
	v_and_b32_e32 v0, v4, v0
	v_mul_lo_u32 v1, v1, 24
	v_mul_hi_u32 v11, v0, 24
	v_mul_lo_u32 v0, v0, 24
	v_add_nc_u32_e32 v1, v11, v1
	s_waitcnt vmcnt(0)
	v_add_co_u32 v0, vcc_lo, v6, v0
	v_mov_b32_e32 v6, v9
	v_add_co_ci_u32_e32 v1, vcc_lo, v7, v1, vcc_lo
	v_mov_b32_e32 v7, v10
	global_store_dwordx2 v[0:1], v[9:10], off
	s_waitcnt_vscnt null, 0x0
	global_atomic_cmpswap_x2 v[6:7], v8, v[4:7], s[26:27] offset:24 glc
	s_waitcnt vmcnt(0)
	v_cmp_ne_u64_e32 vcc_lo, v[6:7], v[9:10]
	s_and_b32 exec_lo, exec_lo, vcc_lo
	s_cbranch_execz .LBB4_956
; %bb.954:
	s_mov_b32 s4, 0
.LBB4_955:                              ; =>This Inner Loop Header: Depth=1
	s_sleep 1
	global_store_dwordx2 v[0:1], v[6:7], off
	s_waitcnt_vscnt null, 0x0
	global_atomic_cmpswap_x2 v[9:10], v8, v[4:7], s[26:27] offset:24 glc
	s_waitcnt vmcnt(0)
	v_cmp_eq_u64_e32 vcc_lo, v[9:10], v[6:7]
	v_mov_b32_e32 v6, v9
	v_mov_b32_e32 v7, v10
	s_or_b32 s4, vcc_lo, s4
	s_andn2_b32 exec_lo, exec_lo, s4
	s_cbranch_execnz .LBB4_955
.LBB4_956:
	s_or_b32 exec_lo, exec_lo, s5
.LBB4_957:
	v_readfirstlane_b32 s4, v50
	s_waitcnt vmcnt(0)
	v_mov_b32_e32 v0, 0
	v_mov_b32_e32 v1, 0
	v_cmp_eq_u32_e64 s4, s4, v50
	s_and_saveexec_b32 s5, s4
	s_cbranch_execz .LBB4_963
; %bb.958:
	v_mov_b32_e32 v4, 0
	s_mov_b32 s6, exec_lo
	global_load_dwordx2 v[7:8], v4, s[26:27] offset:24 glc dlc
	s_waitcnt vmcnt(0)
	buffer_gl1_inv
	buffer_gl0_inv
	s_clause 0x1
	global_load_dwordx2 v[0:1], v4, s[26:27] offset:40
	global_load_dwordx2 v[5:6], v4, s[26:27]
	s_waitcnt vmcnt(1)
	v_and_b32_e32 v1, v1, v8
	v_and_b32_e32 v0, v0, v7
	v_mul_lo_u32 v1, v1, 24
	v_mul_hi_u32 v9, v0, 24
	v_mul_lo_u32 v0, v0, 24
	v_add_nc_u32_e32 v1, v9, v1
	s_waitcnt vmcnt(0)
	v_add_co_u32 v0, vcc_lo, v5, v0
	v_add_co_ci_u32_e32 v1, vcc_lo, v6, v1, vcc_lo
	global_load_dwordx2 v[5:6], v[0:1], off glc dlc
	s_waitcnt vmcnt(0)
	global_atomic_cmpswap_x2 v[0:1], v4, v[5:8], s[26:27] offset:24 glc
	s_waitcnt vmcnt(0)
	buffer_gl1_inv
	buffer_gl0_inv
	v_cmpx_ne_u64_e64 v[0:1], v[7:8]
	s_cbranch_execz .LBB4_962
; %bb.959:
	s_mov_b32 s7, 0
	.p2align	6
.LBB4_960:                              ; =>This Inner Loop Header: Depth=1
	s_sleep 1
	s_clause 0x1
	global_load_dwordx2 v[5:6], v4, s[26:27] offset:40
	global_load_dwordx2 v[9:10], v4, s[26:27]
	v_mov_b32_e32 v8, v1
	v_mov_b32_e32 v7, v0
	s_waitcnt vmcnt(1)
	v_and_b32_e32 v0, v5, v7
	v_and_b32_e32 v5, v6, v8
	s_waitcnt vmcnt(0)
	v_mad_u64_u32 v[0:1], null, v0, 24, v[9:10]
	v_mad_u64_u32 v[5:6], null, v5, 24, v[1:2]
	v_mov_b32_e32 v1, v5
	global_load_dwordx2 v[5:6], v[0:1], off glc dlc
	s_waitcnt vmcnt(0)
	global_atomic_cmpswap_x2 v[0:1], v4, v[5:8], s[26:27] offset:24 glc
	s_waitcnt vmcnt(0)
	buffer_gl1_inv
	buffer_gl0_inv
	v_cmp_eq_u64_e32 vcc_lo, v[0:1], v[7:8]
	s_or_b32 s7, vcc_lo, s7
	s_andn2_b32 exec_lo, exec_lo, s7
	s_cbranch_execnz .LBB4_960
; %bb.961:
	s_or_b32 exec_lo, exec_lo, s7
.LBB4_962:
	s_or_b32 exec_lo, exec_lo, s6
.LBB4_963:
	s_or_b32 exec_lo, exec_lo, s5
	v_mov_b32_e32 v5, 0
	v_readfirstlane_b32 s6, v0
	v_readfirstlane_b32 s7, v1
	s_mov_b32 s5, exec_lo
	s_clause 0x1
	global_load_dwordx2 v[10:11], v5, s[26:27] offset:40
	global_load_dwordx4 v[6:9], v5, s[26:27]
	s_waitcnt vmcnt(1)
	v_readfirstlane_b32 s10, v10
	v_readfirstlane_b32 s11, v11
	s_and_b64 s[10:11], s[6:7], s[10:11]
	s_mul_i32 s16, s11, 24
	s_mul_hi_u32 s17, s10, 24
	s_mul_i32 s18, s10, 24
	s_add_i32 s17, s17, s16
	s_waitcnt vmcnt(0)
	v_add_co_u32 v10, vcc_lo, v6, s18
	v_add_co_ci_u32_e32 v11, vcc_lo, s17, v7, vcc_lo
	s_and_saveexec_b32 s16, s4
	s_cbranch_execz .LBB4_965
; %bb.964:
	v_mov_b32_e32 v4, s5
	v_mov_b32_e32 v13, v5
	;; [unrolled: 1-line block ×5, first 2 shown]
	global_store_dwordx4 v[10:11], v[12:15], off offset:8
.LBB4_965:
	s_or_b32 exec_lo, exec_lo, s16
	s_lshl_b64 s[10:11], s[10:11], 12
	s_mov_b32 s16, 0
	v_add_co_u32 v0, vcc_lo, v8, s10
	v_add_co_ci_u32_e32 v1, vcc_lo, s11, v9, vcc_lo
	s_mov_b32 s17, s16
	s_mov_b32 s18, s16
	;; [unrolled: 1-line block ×3, first 2 shown]
	v_and_or_b32 v2, 0xffffff1d, v2, 34
	v_mov_b32_e32 v4, 0x226
	v_readfirstlane_b32 s10, v0
	v_readfirstlane_b32 s11, v1
	v_mov_b32_e32 v12, s16
	v_mov_b32_e32 v13, s17
	;; [unrolled: 1-line block ×4, first 2 shown]
	global_store_dwordx4 v39, v[2:5], s[10:11]
	global_store_dwordx4 v39, v[12:15], s[10:11] offset:16
	global_store_dwordx4 v39, v[12:15], s[10:11] offset:32
	;; [unrolled: 1-line block ×3, first 2 shown]
	s_and_saveexec_b32 s5, s4
	s_cbranch_execz .LBB4_973
; %bb.966:
	v_mov_b32_e32 v8, 0
	v_mov_b32_e32 v12, s6
	;; [unrolled: 1-line block ×3, first 2 shown]
	s_clause 0x1
	global_load_dwordx2 v[14:15], v8, s[26:27] offset:32 glc dlc
	global_load_dwordx2 v[0:1], v8, s[26:27] offset:40
	s_waitcnt vmcnt(0)
	v_readfirstlane_b32 s10, v0
	v_readfirstlane_b32 s11, v1
	s_and_b64 s[10:11], s[10:11], s[6:7]
	s_mul_i32 s11, s11, 24
	s_mul_hi_u32 s16, s10, 24
	s_mul_i32 s10, s10, 24
	s_add_i32 s16, s16, s11
	v_add_co_u32 v4, vcc_lo, v6, s10
	v_add_co_ci_u32_e32 v5, vcc_lo, s16, v7, vcc_lo
	s_mov_b32 s10, exec_lo
	global_store_dwordx2 v[4:5], v[14:15], off
	s_waitcnt_vscnt null, 0x0
	global_atomic_cmpswap_x2 v[2:3], v8, v[12:15], s[26:27] offset:32 glc
	s_waitcnt vmcnt(0)
	v_cmpx_ne_u64_e64 v[2:3], v[14:15]
	s_cbranch_execz .LBB4_969
; %bb.967:
	s_mov_b32 s11, 0
.LBB4_968:                              ; =>This Inner Loop Header: Depth=1
	v_mov_b32_e32 v0, s6
	v_mov_b32_e32 v1, s7
	s_sleep 1
	global_store_dwordx2 v[4:5], v[2:3], off
	s_waitcnt_vscnt null, 0x0
	global_atomic_cmpswap_x2 v[0:1], v8, v[0:3], s[26:27] offset:32 glc
	s_waitcnt vmcnt(0)
	v_cmp_eq_u64_e32 vcc_lo, v[0:1], v[2:3]
	v_mov_b32_e32 v3, v1
	v_mov_b32_e32 v2, v0
	s_or_b32 s11, vcc_lo, s11
	s_andn2_b32 exec_lo, exec_lo, s11
	s_cbranch_execnz .LBB4_968
.LBB4_969:
	s_or_b32 exec_lo, exec_lo, s10
	v_mov_b32_e32 v3, 0
	s_mov_b32 s11, exec_lo
	s_mov_b32 s10, exec_lo
	v_mbcnt_lo_u32_b32 v2, s11, 0
	global_load_dwordx2 v[0:1], v3, s[26:27] offset:16
	v_cmpx_eq_u32_e32 0, v2
	s_cbranch_execz .LBB4_971
; %bb.970:
	s_bcnt1_i32_b32 s11, s11
	v_mov_b32_e32 v2, s11
	s_waitcnt vmcnt(0)
	global_atomic_add_x2 v[0:1], v[2:3], off offset:8
.LBB4_971:
	s_or_b32 exec_lo, exec_lo, s10
	s_waitcnt vmcnt(0)
	global_load_dwordx2 v[2:3], v[0:1], off offset:16
	s_waitcnt vmcnt(0)
	v_cmp_eq_u64_e32 vcc_lo, 0, v[2:3]
	s_cbranch_vccnz .LBB4_973
; %bb.972:
	global_load_dword v0, v[0:1], off offset:24
	v_mov_b32_e32 v1, 0
	s_waitcnt vmcnt(0)
	v_and_b32_e32 v4, 0x7fffff, v0
	s_waitcnt_vscnt null, 0x0
	global_store_dwordx2 v[2:3], v[0:1], off
	v_readfirstlane_b32 m0, v4
	s_sendmsg sendmsg(MSG_INTERRUPT)
.LBB4_973:
	s_or_b32 exec_lo, exec_lo, s5
	s_branch .LBB4_977
	.p2align	6
.LBB4_974:                              ;   in Loop: Header=BB4_977 Depth=1
	s_or_b32 exec_lo, exec_lo, s5
	v_readfirstlane_b32 s5, v0
	s_cmp_eq_u32 s5, 0
	s_cbranch_scc1 .LBB4_976
; %bb.975:                              ;   in Loop: Header=BB4_977 Depth=1
	s_sleep 1
	s_cbranch_execnz .LBB4_977
	s_branch .LBB4_979
	.p2align	6
.LBB4_976:
	s_branch .LBB4_979
.LBB4_977:                              ; =>This Inner Loop Header: Depth=1
	v_mov_b32_e32 v0, 1
	s_and_saveexec_b32 s5, s4
	s_cbranch_execz .LBB4_974
; %bb.978:                              ;   in Loop: Header=BB4_977 Depth=1
	global_load_dword v0, v[10:11], off offset:20 glc dlc
	s_waitcnt vmcnt(0)
	buffer_gl1_inv
	buffer_gl0_inv
	v_and_b32_e32 v0, 1, v0
	s_branch .LBB4_974
.LBB4_979:
	s_and_saveexec_b32 s5, s4
	s_cbranch_execz .LBB4_983
; %bb.980:
	v_mov_b32_e32 v6, 0
	s_clause 0x2
	global_load_dwordx2 v[2:3], v6, s[26:27] offset:40
	global_load_dwordx2 v[7:8], v6, s[26:27] offset:24 glc dlc
	global_load_dwordx2 v[4:5], v6, s[26:27]
	s_waitcnt vmcnt(2)
	v_add_co_u32 v9, vcc_lo, v2, 1
	v_add_co_ci_u32_e32 v10, vcc_lo, 0, v3, vcc_lo
	v_add_co_u32 v0, vcc_lo, v9, s6
	v_add_co_ci_u32_e32 v1, vcc_lo, s7, v10, vcc_lo
	v_cmp_eq_u64_e32 vcc_lo, 0, v[0:1]
	v_cndmask_b32_e32 v1, v1, v10, vcc_lo
	v_cndmask_b32_e32 v0, v0, v9, vcc_lo
	v_and_b32_e32 v3, v1, v3
	v_and_b32_e32 v2, v0, v2
	v_mul_lo_u32 v3, v3, 24
	v_mul_hi_u32 v9, v2, 24
	v_mul_lo_u32 v2, v2, 24
	v_add_nc_u32_e32 v3, v9, v3
	s_waitcnt vmcnt(0)
	v_add_co_u32 v4, vcc_lo, v4, v2
	v_mov_b32_e32 v2, v7
	v_add_co_ci_u32_e32 v5, vcc_lo, v5, v3, vcc_lo
	v_mov_b32_e32 v3, v8
	global_store_dwordx2 v[4:5], v[7:8], off
	s_waitcnt_vscnt null, 0x0
	global_atomic_cmpswap_x2 v[2:3], v6, v[0:3], s[26:27] offset:24 glc
	s_waitcnt vmcnt(0)
	v_cmp_ne_u64_e32 vcc_lo, v[2:3], v[7:8]
	s_and_b32 exec_lo, exec_lo, vcc_lo
	s_cbranch_execz .LBB4_983
; %bb.981:
	s_mov_b32 s4, 0
.LBB4_982:                              ; =>This Inner Loop Header: Depth=1
	s_sleep 1
	global_store_dwordx2 v[4:5], v[2:3], off
	s_waitcnt_vscnt null, 0x0
	global_atomic_cmpswap_x2 v[7:8], v6, v[0:3], s[26:27] offset:24 glc
	s_waitcnt vmcnt(0)
	v_cmp_eq_u64_e32 vcc_lo, v[7:8], v[2:3]
	v_mov_b32_e32 v2, v7
	v_mov_b32_e32 v3, v8
	s_or_b32 s4, vcc_lo, s4
	s_andn2_b32 exec_lo, exec_lo, s4
	s_cbranch_execnz .LBB4_982
.LBB4_983:
	s_or_b32 exec_lo, exec_lo, s5
	v_readfirstlane_b32 s4, v50
	v_mov_b32_e32 v6, 0
	v_mov_b32_e32 v7, 0
	v_cmp_eq_u32_e64 s4, s4, v50
	s_and_saveexec_b32 s5, s4
	s_cbranch_execz .LBB4_989
; %bb.984:
	v_mov_b32_e32 v0, 0
	s_mov_b32 s6, exec_lo
	global_load_dwordx2 v[3:4], v0, s[26:27] offset:24 glc dlc
	s_waitcnt vmcnt(0)
	buffer_gl1_inv
	buffer_gl0_inv
	s_clause 0x1
	global_load_dwordx2 v[1:2], v0, s[26:27] offset:40
	global_load_dwordx2 v[5:6], v0, s[26:27]
	s_waitcnt vmcnt(1)
	v_and_b32_e32 v2, v2, v4
	v_and_b32_e32 v1, v1, v3
	v_mul_lo_u32 v2, v2, 24
	v_mul_hi_u32 v7, v1, 24
	v_mul_lo_u32 v1, v1, 24
	v_add_nc_u32_e32 v2, v7, v2
	s_waitcnt vmcnt(0)
	v_add_co_u32 v1, vcc_lo, v5, v1
	v_add_co_ci_u32_e32 v2, vcc_lo, v6, v2, vcc_lo
	global_load_dwordx2 v[1:2], v[1:2], off glc dlc
	s_waitcnt vmcnt(0)
	global_atomic_cmpswap_x2 v[6:7], v0, v[1:4], s[26:27] offset:24 glc
	s_waitcnt vmcnt(0)
	buffer_gl1_inv
	buffer_gl0_inv
	v_cmpx_ne_u64_e64 v[6:7], v[3:4]
	s_cbranch_execz .LBB4_988
; %bb.985:
	s_mov_b32 s7, 0
	.p2align	6
.LBB4_986:                              ; =>This Inner Loop Header: Depth=1
	s_sleep 1
	s_clause 0x1
	global_load_dwordx2 v[1:2], v0, s[26:27] offset:40
	global_load_dwordx2 v[8:9], v0, s[26:27]
	v_mov_b32_e32 v3, v6
	v_mov_b32_e32 v4, v7
	s_waitcnt vmcnt(1)
	v_and_b32_e32 v1, v1, v3
	v_and_b32_e32 v2, v2, v4
	s_waitcnt vmcnt(0)
	v_mad_u64_u32 v[5:6], null, v1, 24, v[8:9]
	v_mov_b32_e32 v1, v6
	v_mad_u64_u32 v[1:2], null, v2, 24, v[1:2]
	v_mov_b32_e32 v6, v1
	global_load_dwordx2 v[1:2], v[5:6], off glc dlc
	s_waitcnt vmcnt(0)
	global_atomic_cmpswap_x2 v[6:7], v0, v[1:4], s[26:27] offset:24 glc
	s_waitcnt vmcnt(0)
	buffer_gl1_inv
	buffer_gl0_inv
	v_cmp_eq_u64_e32 vcc_lo, v[6:7], v[3:4]
	s_or_b32 s7, vcc_lo, s7
	s_andn2_b32 exec_lo, exec_lo, s7
	s_cbranch_execnz .LBB4_986
; %bb.987:
	s_or_b32 exec_lo, exec_lo, s7
.LBB4_988:
	s_or_b32 exec_lo, exec_lo, s6
.LBB4_989:
	s_or_b32 exec_lo, exec_lo, s5
	v_mov_b32_e32 v5, 0
	v_readfirstlane_b32 s6, v6
	v_readfirstlane_b32 s7, v7
	s_mov_b32 s5, exec_lo
	s_clause 0x1
	global_load_dwordx2 v[8:9], v5, s[26:27] offset:40
	global_load_dwordx4 v[0:3], v5, s[26:27]
	s_waitcnt vmcnt(1)
	v_readfirstlane_b32 s10, v8
	v_readfirstlane_b32 s11, v9
	s_and_b64 s[10:11], s[6:7], s[10:11]
	s_mul_i32 s16, s11, 24
	s_mul_hi_u32 s17, s10, 24
	s_mul_i32 s18, s10, 24
	s_add_i32 s17, s17, s16
	s_waitcnt vmcnt(0)
	v_add_co_u32 v8, vcc_lo, v0, s18
	v_add_co_ci_u32_e32 v9, vcc_lo, s17, v1, vcc_lo
	s_and_saveexec_b32 s16, s4
	s_cbranch_execz .LBB4_991
; %bb.990:
	v_mov_b32_e32 v4, s5
	v_mov_b32_e32 v6, 2
	;; [unrolled: 1-line block ×3, first 2 shown]
	global_store_dwordx4 v[8:9], v[4:7], off offset:8
.LBB4_991:
	s_or_b32 exec_lo, exec_lo, s16
	s_lshl_b64 s[10:11], s[10:11], 12
	s_mov_b32 s16, 0
	v_add_co_u32 v2, vcc_lo, v2, s10
	v_add_co_ci_u32_e32 v3, vcc_lo, s11, v3, vcc_lo
	s_mov_b32 s17, s16
	v_add_co_u32 v10, vcc_lo, v2, v39
	s_mov_b32 s18, s16
	s_mov_b32 s19, s16
	v_mov_b32_e32 v4, 33
	v_mov_b32_e32 v6, v5
	;; [unrolled: 1-line block ×3, first 2 shown]
	v_readfirstlane_b32 s10, v2
	v_readfirstlane_b32 s11, v3
	v_mov_b32_e32 v12, s16
	v_add_co_ci_u32_e32 v11, vcc_lo, 0, v3, vcc_lo
	v_mov_b32_e32 v13, s17
	v_mov_b32_e32 v14, s18
	v_mov_b32_e32 v15, s19
	global_store_dwordx4 v39, v[4:7], s[10:11]
	global_store_dwordx4 v39, v[12:15], s[10:11] offset:16
	global_store_dwordx4 v39, v[12:15], s[10:11] offset:32
	;; [unrolled: 1-line block ×3, first 2 shown]
	s_and_saveexec_b32 s5, s4
	s_cbranch_execz .LBB4_999
; %bb.992:
	v_mov_b32_e32 v6, 0
	v_mov_b32_e32 v12, s6
	;; [unrolled: 1-line block ×3, first 2 shown]
	s_clause 0x1
	global_load_dwordx2 v[14:15], v6, s[26:27] offset:32 glc dlc
	global_load_dwordx2 v[2:3], v6, s[26:27] offset:40
	s_waitcnt vmcnt(0)
	v_readfirstlane_b32 s10, v2
	v_readfirstlane_b32 s11, v3
	s_and_b64 s[10:11], s[10:11], s[6:7]
	s_mul_i32 s11, s11, 24
	s_mul_hi_u32 s16, s10, 24
	s_mul_i32 s10, s10, 24
	s_add_i32 s16, s16, s11
	v_add_co_u32 v4, vcc_lo, v0, s10
	v_add_co_ci_u32_e32 v5, vcc_lo, s16, v1, vcc_lo
	s_mov_b32 s10, exec_lo
	global_store_dwordx2 v[4:5], v[14:15], off
	s_waitcnt_vscnt null, 0x0
	global_atomic_cmpswap_x2 v[2:3], v6, v[12:15], s[26:27] offset:32 glc
	s_waitcnt vmcnt(0)
	v_cmpx_ne_u64_e64 v[2:3], v[14:15]
	s_cbranch_execz .LBB4_995
; %bb.993:
	s_mov_b32 s11, 0
.LBB4_994:                              ; =>This Inner Loop Header: Depth=1
	v_mov_b32_e32 v0, s6
	v_mov_b32_e32 v1, s7
	s_sleep 1
	global_store_dwordx2 v[4:5], v[2:3], off
	s_waitcnt_vscnt null, 0x0
	global_atomic_cmpswap_x2 v[0:1], v6, v[0:3], s[26:27] offset:32 glc
	s_waitcnt vmcnt(0)
	v_cmp_eq_u64_e32 vcc_lo, v[0:1], v[2:3]
	v_mov_b32_e32 v3, v1
	v_mov_b32_e32 v2, v0
	s_or_b32 s11, vcc_lo, s11
	s_andn2_b32 exec_lo, exec_lo, s11
	s_cbranch_execnz .LBB4_994
.LBB4_995:
	s_or_b32 exec_lo, exec_lo, s10
	v_mov_b32_e32 v3, 0
	s_mov_b32 s11, exec_lo
	s_mov_b32 s10, exec_lo
	v_mbcnt_lo_u32_b32 v2, s11, 0
	global_load_dwordx2 v[0:1], v3, s[26:27] offset:16
	v_cmpx_eq_u32_e32 0, v2
	s_cbranch_execz .LBB4_997
; %bb.996:
	s_bcnt1_i32_b32 s11, s11
	v_mov_b32_e32 v2, s11
	s_waitcnt vmcnt(0)
	global_atomic_add_x2 v[0:1], v[2:3], off offset:8
.LBB4_997:
	s_or_b32 exec_lo, exec_lo, s10
	s_waitcnt vmcnt(0)
	global_load_dwordx2 v[2:3], v[0:1], off offset:16
	s_waitcnt vmcnt(0)
	v_cmp_eq_u64_e32 vcc_lo, 0, v[2:3]
	s_cbranch_vccnz .LBB4_999
; %bb.998:
	global_load_dword v0, v[0:1], off offset:24
	v_mov_b32_e32 v1, 0
	s_waitcnt vmcnt(0)
	v_and_b32_e32 v4, 0x7fffff, v0
	s_waitcnt_vscnt null, 0x0
	global_store_dwordx2 v[2:3], v[0:1], off
	v_readfirstlane_b32 m0, v4
	s_sendmsg sendmsg(MSG_INTERRUPT)
.LBB4_999:
	s_or_b32 exec_lo, exec_lo, s5
	s_branch .LBB4_1003
	.p2align	6
.LBB4_1000:                             ;   in Loop: Header=BB4_1003 Depth=1
	s_or_b32 exec_lo, exec_lo, s5
	v_readfirstlane_b32 s5, v0
	s_cmp_eq_u32 s5, 0
	s_cbranch_scc1 .LBB4_1002
; %bb.1001:                             ;   in Loop: Header=BB4_1003 Depth=1
	s_sleep 1
	s_cbranch_execnz .LBB4_1003
	s_branch .LBB4_1005
	.p2align	6
.LBB4_1002:
	s_branch .LBB4_1005
.LBB4_1003:                             ; =>This Inner Loop Header: Depth=1
	v_mov_b32_e32 v0, 1
	s_and_saveexec_b32 s5, s4
	s_cbranch_execz .LBB4_1000
; %bb.1004:                             ;   in Loop: Header=BB4_1003 Depth=1
	global_load_dword v0, v[8:9], off offset:20 glc dlc
	s_waitcnt vmcnt(0)
	buffer_gl1_inv
	buffer_gl0_inv
	v_and_b32_e32 v0, 1, v0
	s_branch .LBB4_1000
.LBB4_1005:
	global_load_dwordx2 v[0:1], v[10:11], off
	s_and_saveexec_b32 s5, s4
	s_cbranch_execz .LBB4_1009
; %bb.1006:
	v_mov_b32_e32 v8, 0
	s_clause 0x2
	global_load_dwordx2 v[4:5], v8, s[26:27] offset:40
	global_load_dwordx2 v[9:10], v8, s[26:27] offset:24 glc dlc
	global_load_dwordx2 v[6:7], v8, s[26:27]
	s_waitcnt vmcnt(2)
	v_add_co_u32 v11, vcc_lo, v4, 1
	v_add_co_ci_u32_e32 v12, vcc_lo, 0, v5, vcc_lo
	v_add_co_u32 v2, vcc_lo, v11, s6
	v_add_co_ci_u32_e32 v3, vcc_lo, s7, v12, vcc_lo
	v_cmp_eq_u64_e32 vcc_lo, 0, v[2:3]
	v_cndmask_b32_e32 v3, v3, v12, vcc_lo
	v_cndmask_b32_e32 v2, v2, v11, vcc_lo
	v_and_b32_e32 v5, v3, v5
	v_and_b32_e32 v4, v2, v4
	v_mul_lo_u32 v5, v5, 24
	v_mul_hi_u32 v11, v4, 24
	v_mul_lo_u32 v4, v4, 24
	v_add_nc_u32_e32 v5, v11, v5
	s_waitcnt vmcnt(0)
	v_add_co_u32 v6, vcc_lo, v6, v4
	v_mov_b32_e32 v4, v9
	v_add_co_ci_u32_e32 v7, vcc_lo, v7, v5, vcc_lo
	v_mov_b32_e32 v5, v10
	global_store_dwordx2 v[6:7], v[9:10], off
	s_waitcnt_vscnt null, 0x0
	global_atomic_cmpswap_x2 v[4:5], v8, v[2:5], s[26:27] offset:24 glc
	s_waitcnt vmcnt(0)
	v_cmp_ne_u64_e32 vcc_lo, v[4:5], v[9:10]
	s_and_b32 exec_lo, exec_lo, vcc_lo
	s_cbranch_execz .LBB4_1009
; %bb.1007:
	s_mov_b32 s4, 0
.LBB4_1008:                             ; =>This Inner Loop Header: Depth=1
	s_sleep 1
	global_store_dwordx2 v[6:7], v[4:5], off
	s_waitcnt_vscnt null, 0x0
	global_atomic_cmpswap_x2 v[9:10], v8, v[2:5], s[26:27] offset:24 glc
	s_waitcnt vmcnt(0)
	v_cmp_eq_u64_e32 vcc_lo, v[9:10], v[4:5]
	v_mov_b32_e32 v4, v9
	v_mov_b32_e32 v5, v10
	s_or_b32 s4, vcc_lo, s4
	s_andn2_b32 exec_lo, exec_lo, s4
	s_cbranch_execnz .LBB4_1008
.LBB4_1009:
	s_or_b32 exec_lo, exec_lo, s5
	s_and_b32 vcc_lo, exec_lo, s35
	s_cbranch_vccz .LBB4_1088
; %bb.1010:
	s_waitcnt vmcnt(0)
	v_and_b32_e32 v31, 2, v0
	v_mov_b32_e32 v6, 0
	v_and_b32_e32 v2, -3, v0
	v_mov_b32_e32 v3, v1
	v_mov_b32_e32 v7, 2
	;; [unrolled: 1-line block ×3, first 2 shown]
	s_mov_b64 s[10:11], 3
	s_getpc_b64 s[6:7]
	s_add_u32 s6, s6, .str.6@rel32@lo+4
	s_addc_u32 s7, s7, .str.6@rel32@hi+12
	s_branch .LBB4_1012
.LBB4_1011:                             ;   in Loop: Header=BB4_1012 Depth=1
	s_or_b32 exec_lo, exec_lo, s5
	s_sub_u32 s10, s10, s16
	s_subb_u32 s11, s11, s17
	s_add_u32 s6, s6, s16
	s_addc_u32 s7, s7, s17
	s_cmp_lg_u64 s[10:11], 0
	s_cbranch_scc0 .LBB4_1087
.LBB4_1012:                             ; =>This Loop Header: Depth=1
                                        ;     Child Loop BB4_1021 Depth 2
                                        ;     Child Loop BB4_1017 Depth 2
	;; [unrolled: 1-line block ×11, first 2 shown]
	v_cmp_lt_u64_e64 s4, s[10:11], 56
	v_cmp_gt_u64_e64 s5, s[10:11], 7
                                        ; implicit-def: $vgpr11_vgpr12
                                        ; implicit-def: $sgpr22
	s_and_b32 s4, s4, exec_lo
	s_cselect_b32 s17, s11, 0
	s_cselect_b32 s16, s10, 56
	s_and_b32 vcc_lo, exec_lo, s5
	s_mov_b32 s4, -1
	s_cbranch_vccz .LBB4_1019
; %bb.1013:                             ;   in Loop: Header=BB4_1012 Depth=1
	s_andn2_b32 vcc_lo, exec_lo, s4
	s_mov_b64 s[4:5], s[6:7]
	s_cbranch_vccz .LBB4_1023
.LBB4_1014:                             ;   in Loop: Header=BB4_1012 Depth=1
	s_cmp_gt_u32 s22, 7
	s_cbranch_scc1 .LBB4_1024
.LBB4_1015:                             ;   in Loop: Header=BB4_1012 Depth=1
	v_mov_b32_e32 v13, 0
	v_mov_b32_e32 v14, 0
	s_cmp_eq_u32 s22, 0
	s_cbranch_scc1 .LBB4_1018
; %bb.1016:                             ;   in Loop: Header=BB4_1012 Depth=1
	s_mov_b64 s[18:19], 0
	s_mov_b64 s[20:21], 0
.LBB4_1017:                             ;   Parent Loop BB4_1012 Depth=1
                                        ; =>  This Inner Loop Header: Depth=2
	s_add_u32 s24, s4, s20
	s_addc_u32 s25, s5, s21
	s_add_u32 s20, s20, 1
	global_load_ubyte v4, v6, s[24:25]
	s_addc_u32 s21, s21, 0
	s_waitcnt vmcnt(0)
	v_and_b32_e32 v5, 0xffff, v4
	v_lshlrev_b64 v[4:5], s18, v[5:6]
	s_add_u32 s18, s18, 8
	s_addc_u32 s19, s19, 0
	s_cmp_lg_u32 s22, s20
	v_or_b32_e32 v13, v4, v13
	v_or_b32_e32 v14, v5, v14
	s_cbranch_scc1 .LBB4_1017
.LBB4_1018:                             ;   in Loop: Header=BB4_1012 Depth=1
	s_mov_b32 s23, 0
	s_cbranch_execz .LBB4_1025
	s_branch .LBB4_1026
.LBB4_1019:                             ;   in Loop: Header=BB4_1012 Depth=1
	v_mov_b32_e32 v11, 0
	v_mov_b32_e32 v12, 0
	s_cmp_eq_u64 s[10:11], 0
	s_mov_b64 s[4:5], 0
	s_cbranch_scc1 .LBB4_1022
; %bb.1020:                             ;   in Loop: Header=BB4_1012 Depth=1
	v_mov_b32_e32 v11, 0
	v_mov_b32_e32 v12, 0
	s_lshl_b64 s[18:19], s[16:17], 3
	s_mov_b64 s[20:21], s[6:7]
.LBB4_1021:                             ;   Parent Loop BB4_1012 Depth=1
                                        ; =>  This Inner Loop Header: Depth=2
	global_load_ubyte v4, v6, s[20:21]
	s_waitcnt vmcnt(0)
	v_and_b32_e32 v5, 0xffff, v4
	v_lshlrev_b64 v[4:5], s4, v[5:6]
	s_add_u32 s4, s4, 8
	s_addc_u32 s5, s5, 0
	s_add_u32 s20, s20, 1
	s_addc_u32 s21, s21, 0
	s_cmp_lg_u32 s18, s4
	v_or_b32_e32 v11, v4, v11
	v_or_b32_e32 v12, v5, v12
	s_cbranch_scc1 .LBB4_1021
.LBB4_1022:                             ;   in Loop: Header=BB4_1012 Depth=1
	s_mov_b32 s22, 0
	s_mov_b64 s[4:5], s[6:7]
	s_cbranch_execnz .LBB4_1014
.LBB4_1023:                             ;   in Loop: Header=BB4_1012 Depth=1
	global_load_dwordx2 v[11:12], v6, s[6:7]
	s_add_i32 s22, s16, -8
	s_add_u32 s4, s6, 8
	s_addc_u32 s5, s7, 0
	s_cmp_gt_u32 s22, 7
	s_cbranch_scc0 .LBB4_1015
.LBB4_1024:                             ;   in Loop: Header=BB4_1012 Depth=1
                                        ; implicit-def: $vgpr13_vgpr14
                                        ; implicit-def: $sgpr23
.LBB4_1025:                             ;   in Loop: Header=BB4_1012 Depth=1
	global_load_dwordx2 v[13:14], v6, s[4:5]
	s_add_i32 s23, s22, -8
	s_add_u32 s4, s4, 8
	s_addc_u32 s5, s5, 0
.LBB4_1026:                             ;   in Loop: Header=BB4_1012 Depth=1
	s_cmp_gt_u32 s23, 7
	s_cbranch_scc1 .LBB4_1031
; %bb.1027:                             ;   in Loop: Header=BB4_1012 Depth=1
	v_mov_b32_e32 v15, 0
	v_mov_b32_e32 v16, 0
	s_cmp_eq_u32 s23, 0
	s_cbranch_scc1 .LBB4_1030
; %bb.1028:                             ;   in Loop: Header=BB4_1012 Depth=1
	s_mov_b64 s[18:19], 0
	s_mov_b64 s[20:21], 0
.LBB4_1029:                             ;   Parent Loop BB4_1012 Depth=1
                                        ; =>  This Inner Loop Header: Depth=2
	s_add_u32 s24, s4, s20
	s_addc_u32 s25, s5, s21
	s_add_u32 s20, s20, 1
	global_load_ubyte v4, v6, s[24:25]
	s_addc_u32 s21, s21, 0
	s_waitcnt vmcnt(0)
	v_and_b32_e32 v5, 0xffff, v4
	v_lshlrev_b64 v[4:5], s18, v[5:6]
	s_add_u32 s18, s18, 8
	s_addc_u32 s19, s19, 0
	s_cmp_lg_u32 s23, s20
	v_or_b32_e32 v15, v4, v15
	v_or_b32_e32 v16, v5, v16
	s_cbranch_scc1 .LBB4_1029
.LBB4_1030:                             ;   in Loop: Header=BB4_1012 Depth=1
	s_mov_b32 s22, 0
	s_cbranch_execz .LBB4_1032
	s_branch .LBB4_1033
.LBB4_1031:                             ;   in Loop: Header=BB4_1012 Depth=1
                                        ; implicit-def: $sgpr22
.LBB4_1032:                             ;   in Loop: Header=BB4_1012 Depth=1
	global_load_dwordx2 v[15:16], v6, s[4:5]
	s_add_i32 s22, s23, -8
	s_add_u32 s4, s4, 8
	s_addc_u32 s5, s5, 0
.LBB4_1033:                             ;   in Loop: Header=BB4_1012 Depth=1
	s_cmp_gt_u32 s22, 7
	s_cbranch_scc1 .LBB4_1038
; %bb.1034:                             ;   in Loop: Header=BB4_1012 Depth=1
	v_mov_b32_e32 v17, 0
	v_mov_b32_e32 v18, 0
	s_cmp_eq_u32 s22, 0
	s_cbranch_scc1 .LBB4_1037
; %bb.1035:                             ;   in Loop: Header=BB4_1012 Depth=1
	s_mov_b64 s[18:19], 0
	s_mov_b64 s[20:21], 0
.LBB4_1036:                             ;   Parent Loop BB4_1012 Depth=1
                                        ; =>  This Inner Loop Header: Depth=2
	s_add_u32 s24, s4, s20
	s_addc_u32 s25, s5, s21
	s_add_u32 s20, s20, 1
	global_load_ubyte v4, v6, s[24:25]
	s_addc_u32 s21, s21, 0
	s_waitcnt vmcnt(0)
	v_and_b32_e32 v5, 0xffff, v4
	v_lshlrev_b64 v[4:5], s18, v[5:6]
	s_add_u32 s18, s18, 8
	s_addc_u32 s19, s19, 0
	s_cmp_lg_u32 s22, s20
	v_or_b32_e32 v17, v4, v17
	v_or_b32_e32 v18, v5, v18
	s_cbranch_scc1 .LBB4_1036
.LBB4_1037:                             ;   in Loop: Header=BB4_1012 Depth=1
	s_mov_b32 s23, 0
	s_cbranch_execz .LBB4_1039
	s_branch .LBB4_1040
.LBB4_1038:                             ;   in Loop: Header=BB4_1012 Depth=1
                                        ; implicit-def: $vgpr17_vgpr18
                                        ; implicit-def: $sgpr23
.LBB4_1039:                             ;   in Loop: Header=BB4_1012 Depth=1
	global_load_dwordx2 v[17:18], v6, s[4:5]
	s_add_i32 s23, s22, -8
	s_add_u32 s4, s4, 8
	s_addc_u32 s5, s5, 0
.LBB4_1040:                             ;   in Loop: Header=BB4_1012 Depth=1
	s_cmp_gt_u32 s23, 7
	s_cbranch_scc1 .LBB4_1045
; %bb.1041:                             ;   in Loop: Header=BB4_1012 Depth=1
	v_mov_b32_e32 v19, 0
	v_mov_b32_e32 v20, 0
	s_cmp_eq_u32 s23, 0
	s_cbranch_scc1 .LBB4_1044
; %bb.1042:                             ;   in Loop: Header=BB4_1012 Depth=1
	s_mov_b64 s[18:19], 0
	s_mov_b64 s[20:21], 0
.LBB4_1043:                             ;   Parent Loop BB4_1012 Depth=1
                                        ; =>  This Inner Loop Header: Depth=2
	s_add_u32 s24, s4, s20
	s_addc_u32 s25, s5, s21
	s_add_u32 s20, s20, 1
	global_load_ubyte v4, v6, s[24:25]
	s_addc_u32 s21, s21, 0
	s_waitcnt vmcnt(0)
	v_and_b32_e32 v5, 0xffff, v4
	v_lshlrev_b64 v[4:5], s18, v[5:6]
	s_add_u32 s18, s18, 8
	s_addc_u32 s19, s19, 0
	s_cmp_lg_u32 s23, s20
	v_or_b32_e32 v19, v4, v19
	v_or_b32_e32 v20, v5, v20
	s_cbranch_scc1 .LBB4_1043
.LBB4_1044:                             ;   in Loop: Header=BB4_1012 Depth=1
	s_mov_b32 s22, 0
	s_cbranch_execz .LBB4_1046
	s_branch .LBB4_1047
.LBB4_1045:                             ;   in Loop: Header=BB4_1012 Depth=1
                                        ; implicit-def: $sgpr22
.LBB4_1046:                             ;   in Loop: Header=BB4_1012 Depth=1
	global_load_dwordx2 v[19:20], v6, s[4:5]
	s_add_i32 s22, s23, -8
	s_add_u32 s4, s4, 8
	s_addc_u32 s5, s5, 0
.LBB4_1047:                             ;   in Loop: Header=BB4_1012 Depth=1
	s_cmp_gt_u32 s22, 7
	s_cbranch_scc1 .LBB4_1052
; %bb.1048:                             ;   in Loop: Header=BB4_1012 Depth=1
	v_mov_b32_e32 v21, 0
	v_mov_b32_e32 v22, 0
	s_cmp_eq_u32 s22, 0
	s_cbranch_scc1 .LBB4_1051
; %bb.1049:                             ;   in Loop: Header=BB4_1012 Depth=1
	s_mov_b64 s[18:19], 0
	s_mov_b64 s[20:21], 0
.LBB4_1050:                             ;   Parent Loop BB4_1012 Depth=1
                                        ; =>  This Inner Loop Header: Depth=2
	s_add_u32 s24, s4, s20
	s_addc_u32 s25, s5, s21
	s_add_u32 s20, s20, 1
	global_load_ubyte v4, v6, s[24:25]
	s_addc_u32 s21, s21, 0
	s_waitcnt vmcnt(0)
	v_and_b32_e32 v5, 0xffff, v4
	v_lshlrev_b64 v[4:5], s18, v[5:6]
	s_add_u32 s18, s18, 8
	s_addc_u32 s19, s19, 0
	s_cmp_lg_u32 s22, s20
	v_or_b32_e32 v21, v4, v21
	v_or_b32_e32 v22, v5, v22
	s_cbranch_scc1 .LBB4_1050
.LBB4_1051:                             ;   in Loop: Header=BB4_1012 Depth=1
	s_mov_b32 s23, 0
	s_cbranch_execz .LBB4_1053
	s_branch .LBB4_1054
.LBB4_1052:                             ;   in Loop: Header=BB4_1012 Depth=1
                                        ; implicit-def: $vgpr21_vgpr22
                                        ; implicit-def: $sgpr23
.LBB4_1053:                             ;   in Loop: Header=BB4_1012 Depth=1
	global_load_dwordx2 v[21:22], v6, s[4:5]
	s_add_i32 s23, s22, -8
	s_add_u32 s4, s4, 8
	s_addc_u32 s5, s5, 0
.LBB4_1054:                             ;   in Loop: Header=BB4_1012 Depth=1
	s_cmp_gt_u32 s23, 7
	s_cbranch_scc1 .LBB4_1059
; %bb.1055:                             ;   in Loop: Header=BB4_1012 Depth=1
	v_mov_b32_e32 v23, 0
	v_mov_b32_e32 v24, 0
	s_cmp_eq_u32 s23, 0
	s_cbranch_scc1 .LBB4_1058
; %bb.1056:                             ;   in Loop: Header=BB4_1012 Depth=1
	s_mov_b64 s[18:19], 0
	s_mov_b64 s[20:21], s[4:5]
.LBB4_1057:                             ;   Parent Loop BB4_1012 Depth=1
                                        ; =>  This Inner Loop Header: Depth=2
	global_load_ubyte v4, v6, s[20:21]
	s_add_i32 s23, s23, -1
	s_waitcnt vmcnt(0)
	v_and_b32_e32 v5, 0xffff, v4
	v_lshlrev_b64 v[4:5], s18, v[5:6]
	s_add_u32 s18, s18, 8
	s_addc_u32 s19, s19, 0
	s_add_u32 s20, s20, 1
	s_addc_u32 s21, s21, 0
	s_cmp_lg_u32 s23, 0
	v_or_b32_e32 v23, v4, v23
	v_or_b32_e32 v24, v5, v24
	s_cbranch_scc1 .LBB4_1057
.LBB4_1058:                             ;   in Loop: Header=BB4_1012 Depth=1
	s_cbranch_execz .LBB4_1060
	s_branch .LBB4_1061
.LBB4_1059:                             ;   in Loop: Header=BB4_1012 Depth=1
.LBB4_1060:                             ;   in Loop: Header=BB4_1012 Depth=1
	global_load_dwordx2 v[23:24], v6, s[4:5]
.LBB4_1061:                             ;   in Loop: Header=BB4_1012 Depth=1
	v_readfirstlane_b32 s4, v50
	s_waitcnt vmcnt(0)
	v_mov_b32_e32 v4, 0
	v_mov_b32_e32 v5, 0
	v_cmp_eq_u32_e64 s4, s4, v50
	s_and_saveexec_b32 s5, s4
	s_cbranch_execz .LBB4_1067
; %bb.1062:                             ;   in Loop: Header=BB4_1012 Depth=1
	global_load_dwordx2 v[27:28], v6, s[26:27] offset:24 glc dlc
	s_waitcnt vmcnt(0)
	buffer_gl1_inv
	buffer_gl0_inv
	s_clause 0x1
	global_load_dwordx2 v[4:5], v6, s[26:27] offset:40
	global_load_dwordx2 v[9:10], v6, s[26:27]
	s_mov_b32 s18, exec_lo
	s_waitcnt vmcnt(1)
	v_and_b32_e32 v5, v5, v28
	v_and_b32_e32 v4, v4, v27
	v_mul_lo_u32 v5, v5, 24
	v_mul_hi_u32 v25, v4, 24
	v_mul_lo_u32 v4, v4, 24
	v_add_nc_u32_e32 v5, v25, v5
	s_waitcnt vmcnt(0)
	v_add_co_u32 v4, vcc_lo, v9, v4
	v_add_co_ci_u32_e32 v5, vcc_lo, v10, v5, vcc_lo
	global_load_dwordx2 v[25:26], v[4:5], off glc dlc
	s_waitcnt vmcnt(0)
	global_atomic_cmpswap_x2 v[4:5], v6, v[25:28], s[26:27] offset:24 glc
	s_waitcnt vmcnt(0)
	buffer_gl1_inv
	buffer_gl0_inv
	v_cmpx_ne_u64_e64 v[4:5], v[27:28]
	s_cbranch_execz .LBB4_1066
; %bb.1063:                             ;   in Loop: Header=BB4_1012 Depth=1
	s_mov_b32 s19, 0
	.p2align	6
.LBB4_1064:                             ;   Parent Loop BB4_1012 Depth=1
                                        ; =>  This Inner Loop Header: Depth=2
	s_sleep 1
	s_clause 0x1
	global_load_dwordx2 v[9:10], v6, s[26:27] offset:40
	global_load_dwordx2 v[25:26], v6, s[26:27]
	v_mov_b32_e32 v28, v5
	v_mov_b32_e32 v27, v4
	s_waitcnt vmcnt(1)
	v_and_b32_e32 v4, v9, v27
	v_and_b32_e32 v9, v10, v28
	s_waitcnt vmcnt(0)
	v_mad_u64_u32 v[4:5], null, v4, 24, v[25:26]
	v_mad_u64_u32 v[9:10], null, v9, 24, v[5:6]
	v_mov_b32_e32 v5, v9
	global_load_dwordx2 v[25:26], v[4:5], off glc dlc
	s_waitcnt vmcnt(0)
	global_atomic_cmpswap_x2 v[4:5], v6, v[25:28], s[26:27] offset:24 glc
	s_waitcnt vmcnt(0)
	buffer_gl1_inv
	buffer_gl0_inv
	v_cmp_eq_u64_e32 vcc_lo, v[4:5], v[27:28]
	s_or_b32 s19, vcc_lo, s19
	s_andn2_b32 exec_lo, exec_lo, s19
	s_cbranch_execnz .LBB4_1064
; %bb.1065:                             ;   in Loop: Header=BB4_1012 Depth=1
	s_or_b32 exec_lo, exec_lo, s19
.LBB4_1066:                             ;   in Loop: Header=BB4_1012 Depth=1
	s_or_b32 exec_lo, exec_lo, s18
.LBB4_1067:                             ;   in Loop: Header=BB4_1012 Depth=1
	s_or_b32 exec_lo, exec_lo, s5
	s_clause 0x1
	global_load_dwordx2 v[9:10], v6, s[26:27] offset:40
	global_load_dwordx4 v[25:28], v6, s[26:27]
	v_readfirstlane_b32 s18, v4
	v_readfirstlane_b32 s19, v5
	s_mov_b32 s5, exec_lo
	s_waitcnt vmcnt(1)
	v_readfirstlane_b32 s20, v9
	v_readfirstlane_b32 s21, v10
	s_and_b64 s[20:21], s[18:19], s[20:21]
	s_mul_i32 s22, s21, 24
	s_mul_hi_u32 s23, s20, 24
	s_mul_i32 s24, s20, 24
	s_add_i32 s23, s23, s22
	s_waitcnt vmcnt(0)
	v_add_co_u32 v29, vcc_lo, v25, s24
	v_add_co_ci_u32_e32 v30, vcc_lo, s23, v26, vcc_lo
	s_and_saveexec_b32 s22, s4
	s_cbranch_execz .LBB4_1069
; %bb.1068:                             ;   in Loop: Header=BB4_1012 Depth=1
	v_mov_b32_e32 v5, s5
	global_store_dwordx4 v[29:30], v[5:8], off offset:8
.LBB4_1069:                             ;   in Loop: Header=BB4_1012 Depth=1
	s_or_b32 exec_lo, exec_lo, s22
	s_lshl_b64 s[20:21], s[20:21], 12
	v_cmp_gt_u64_e64 vcc_lo, s[10:11], 56
	v_or_b32_e32 v5, v2, v31
	v_add_co_u32 v27, s5, v27, s20
	v_add_co_ci_u32_e64 v28, s5, s21, v28, s5
	s_lshl_b32 s5, s16, 2
	v_or_b32_e32 v4, 0, v3
	v_cndmask_b32_e32 v2, v5, v2, vcc_lo
	s_add_i32 s5, s5, 28
	v_readfirstlane_b32 s20, v27
	s_and_b32 s5, s5, 0x1e0
	v_cndmask_b32_e32 v10, v4, v3, vcc_lo
	v_readfirstlane_b32 s21, v28
	v_and_or_b32 v9, 0xffffff1f, v2, s5
	global_store_dwordx4 v39, v[9:12], s[20:21]
	global_store_dwordx4 v39, v[13:16], s[20:21] offset:16
	global_store_dwordx4 v39, v[17:20], s[20:21] offset:32
	;; [unrolled: 1-line block ×3, first 2 shown]
	s_and_saveexec_b32 s5, s4
	s_cbranch_execz .LBB4_1077
; %bb.1070:                             ;   in Loop: Header=BB4_1012 Depth=1
	s_clause 0x1
	global_load_dwordx2 v[13:14], v6, s[26:27] offset:32 glc dlc
	global_load_dwordx2 v[2:3], v6, s[26:27] offset:40
	v_mov_b32_e32 v11, s18
	v_mov_b32_e32 v12, s19
	s_waitcnt vmcnt(0)
	v_readfirstlane_b32 s20, v2
	v_readfirstlane_b32 s21, v3
	s_and_b64 s[20:21], s[20:21], s[18:19]
	s_mul_i32 s21, s21, 24
	s_mul_hi_u32 s22, s20, 24
	s_mul_i32 s20, s20, 24
	s_add_i32 s22, s22, s21
	v_add_co_u32 v9, vcc_lo, v25, s20
	v_add_co_ci_u32_e32 v10, vcc_lo, s22, v26, vcc_lo
	s_mov_b32 s20, exec_lo
	global_store_dwordx2 v[9:10], v[13:14], off
	s_waitcnt_vscnt null, 0x0
	global_atomic_cmpswap_x2 v[4:5], v6, v[11:14], s[26:27] offset:32 glc
	s_waitcnt vmcnt(0)
	v_cmpx_ne_u64_e64 v[4:5], v[13:14]
	s_cbranch_execz .LBB4_1073
; %bb.1071:                             ;   in Loop: Header=BB4_1012 Depth=1
	s_mov_b32 s21, 0
.LBB4_1072:                             ;   Parent Loop BB4_1012 Depth=1
                                        ; =>  This Inner Loop Header: Depth=2
	v_mov_b32_e32 v2, s18
	v_mov_b32_e32 v3, s19
	s_sleep 1
	global_store_dwordx2 v[9:10], v[4:5], off
	s_waitcnt_vscnt null, 0x0
	global_atomic_cmpswap_x2 v[2:3], v6, v[2:5], s[26:27] offset:32 glc
	s_waitcnt vmcnt(0)
	v_cmp_eq_u64_e32 vcc_lo, v[2:3], v[4:5]
	v_mov_b32_e32 v5, v3
	v_mov_b32_e32 v4, v2
	s_or_b32 s21, vcc_lo, s21
	s_andn2_b32 exec_lo, exec_lo, s21
	s_cbranch_execnz .LBB4_1072
.LBB4_1073:                             ;   in Loop: Header=BB4_1012 Depth=1
	s_or_b32 exec_lo, exec_lo, s20
	global_load_dwordx2 v[2:3], v6, s[26:27] offset:16
	s_mov_b32 s21, exec_lo
	s_mov_b32 s20, exec_lo
	v_mbcnt_lo_u32_b32 v4, s21, 0
	v_cmpx_eq_u32_e32 0, v4
	s_cbranch_execz .LBB4_1075
; %bb.1074:                             ;   in Loop: Header=BB4_1012 Depth=1
	s_bcnt1_i32_b32 s21, s21
	v_mov_b32_e32 v5, s21
	s_waitcnt vmcnt(0)
	global_atomic_add_x2 v[2:3], v[5:6], off offset:8
.LBB4_1075:                             ;   in Loop: Header=BB4_1012 Depth=1
	s_or_b32 exec_lo, exec_lo, s20
	s_waitcnt vmcnt(0)
	global_load_dwordx2 v[9:10], v[2:3], off offset:16
	s_waitcnt vmcnt(0)
	v_cmp_eq_u64_e32 vcc_lo, 0, v[9:10]
	s_cbranch_vccnz .LBB4_1077
; %bb.1076:                             ;   in Loop: Header=BB4_1012 Depth=1
	global_load_dword v5, v[2:3], off offset:24
	s_waitcnt vmcnt(0)
	v_and_b32_e32 v2, 0x7fffff, v5
	s_waitcnt_vscnt null, 0x0
	global_store_dwordx2 v[9:10], v[5:6], off
	v_readfirstlane_b32 m0, v2
	s_sendmsg sendmsg(MSG_INTERRUPT)
.LBB4_1077:                             ;   in Loop: Header=BB4_1012 Depth=1
	s_or_b32 exec_lo, exec_lo, s5
	v_add_co_u32 v2, vcc_lo, v27, v39
	v_add_co_ci_u32_e32 v3, vcc_lo, 0, v28, vcc_lo
	s_branch .LBB4_1081
	.p2align	6
.LBB4_1078:                             ;   in Loop: Header=BB4_1081 Depth=2
	s_or_b32 exec_lo, exec_lo, s5
	v_readfirstlane_b32 s5, v4
	s_cmp_eq_u32 s5, 0
	s_cbranch_scc1 .LBB4_1080
; %bb.1079:                             ;   in Loop: Header=BB4_1081 Depth=2
	s_sleep 1
	s_cbranch_execnz .LBB4_1081
	s_branch .LBB4_1083
	.p2align	6
.LBB4_1080:                             ;   in Loop: Header=BB4_1012 Depth=1
	s_branch .LBB4_1083
.LBB4_1081:                             ;   Parent Loop BB4_1012 Depth=1
                                        ; =>  This Inner Loop Header: Depth=2
	v_mov_b32_e32 v4, 1
	s_and_saveexec_b32 s5, s4
	s_cbranch_execz .LBB4_1078
; %bb.1082:                             ;   in Loop: Header=BB4_1081 Depth=2
	global_load_dword v4, v[29:30], off offset:20 glc dlc
	s_waitcnt vmcnt(0)
	buffer_gl1_inv
	buffer_gl0_inv
	v_and_b32_e32 v4, 1, v4
	s_branch .LBB4_1078
.LBB4_1083:                             ;   in Loop: Header=BB4_1012 Depth=1
	global_load_dwordx4 v[2:5], v[2:3], off
	s_and_saveexec_b32 s5, s4
	s_cbranch_execz .LBB4_1011
; %bb.1084:                             ;   in Loop: Header=BB4_1012 Depth=1
	s_clause 0x2
	global_load_dwordx2 v[4:5], v6, s[26:27] offset:40
	global_load_dwordx2 v[13:14], v6, s[26:27] offset:24 glc dlc
	global_load_dwordx2 v[11:12], v6, s[26:27]
	s_waitcnt vmcnt(2)
	v_add_co_u32 v15, vcc_lo, v4, 1
	v_add_co_ci_u32_e32 v16, vcc_lo, 0, v5, vcc_lo
	v_add_co_u32 v9, vcc_lo, v15, s18
	v_add_co_ci_u32_e32 v10, vcc_lo, s19, v16, vcc_lo
	v_cmp_eq_u64_e32 vcc_lo, 0, v[9:10]
	v_cndmask_b32_e32 v10, v10, v16, vcc_lo
	v_cndmask_b32_e32 v9, v9, v15, vcc_lo
	v_and_b32_e32 v5, v10, v5
	v_and_b32_e32 v4, v9, v4
	v_mul_lo_u32 v5, v5, 24
	v_mul_hi_u32 v15, v4, 24
	v_mul_lo_u32 v4, v4, 24
	v_add_nc_u32_e32 v5, v15, v5
	s_waitcnt vmcnt(0)
	v_add_co_u32 v4, vcc_lo, v11, v4
	v_mov_b32_e32 v11, v13
	v_add_co_ci_u32_e32 v5, vcc_lo, v12, v5, vcc_lo
	v_mov_b32_e32 v12, v14
	global_store_dwordx2 v[4:5], v[13:14], off
	s_waitcnt_vscnt null, 0x0
	global_atomic_cmpswap_x2 v[11:12], v6, v[9:12], s[26:27] offset:24 glc
	s_waitcnt vmcnt(0)
	v_cmp_ne_u64_e32 vcc_lo, v[11:12], v[13:14]
	s_and_b32 exec_lo, exec_lo, vcc_lo
	s_cbranch_execz .LBB4_1011
; %bb.1085:                             ;   in Loop: Header=BB4_1012 Depth=1
	s_mov_b32 s4, 0
.LBB4_1086:                             ;   Parent Loop BB4_1012 Depth=1
                                        ; =>  This Inner Loop Header: Depth=2
	s_sleep 1
	global_store_dwordx2 v[4:5], v[11:12], off
	s_waitcnt_vscnt null, 0x0
	global_atomic_cmpswap_x2 v[13:14], v6, v[9:12], s[26:27] offset:24 glc
	s_waitcnt vmcnt(0)
	v_cmp_eq_u64_e32 vcc_lo, v[13:14], v[11:12]
	v_mov_b32_e32 v11, v13
	v_mov_b32_e32 v12, v14
	s_or_b32 s4, vcc_lo, s4
	s_andn2_b32 exec_lo, exec_lo, s4
	s_cbranch_execnz .LBB4_1086
	s_branch .LBB4_1011
.LBB4_1087:
	s_branch .LBB4_1116
.LBB4_1088:
                                        ; implicit-def: $vgpr2_vgpr3
	s_cbranch_execz .LBB4_1116
; %bb.1089:
	v_readfirstlane_b32 s4, v50
	v_mov_b32_e32 v8, 0
	v_mov_b32_e32 v9, 0
	v_cmp_eq_u32_e64 s4, s4, v50
	s_and_saveexec_b32 s5, s4
	s_cbranch_execz .LBB4_1095
; %bb.1090:
	s_waitcnt vmcnt(0)
	v_mov_b32_e32 v2, 0
	s_mov_b32 s6, exec_lo
	global_load_dwordx2 v[5:6], v2, s[26:27] offset:24 glc dlc
	s_waitcnt vmcnt(0)
	buffer_gl1_inv
	buffer_gl0_inv
	s_clause 0x1
	global_load_dwordx2 v[3:4], v2, s[26:27] offset:40
	global_load_dwordx2 v[7:8], v2, s[26:27]
	s_waitcnt vmcnt(1)
	v_and_b32_e32 v4, v4, v6
	v_and_b32_e32 v3, v3, v5
	v_mul_lo_u32 v4, v4, 24
	v_mul_hi_u32 v9, v3, 24
	v_mul_lo_u32 v3, v3, 24
	v_add_nc_u32_e32 v4, v9, v4
	s_waitcnt vmcnt(0)
	v_add_co_u32 v3, vcc_lo, v7, v3
	v_add_co_ci_u32_e32 v4, vcc_lo, v8, v4, vcc_lo
	global_load_dwordx2 v[3:4], v[3:4], off glc dlc
	s_waitcnt vmcnt(0)
	global_atomic_cmpswap_x2 v[8:9], v2, v[3:6], s[26:27] offset:24 glc
	s_waitcnt vmcnt(0)
	buffer_gl1_inv
	buffer_gl0_inv
	v_cmpx_ne_u64_e64 v[8:9], v[5:6]
	s_cbranch_execz .LBB4_1094
; %bb.1091:
	s_mov_b32 s7, 0
	.p2align	6
.LBB4_1092:                             ; =>This Inner Loop Header: Depth=1
	s_sleep 1
	s_clause 0x1
	global_load_dwordx2 v[3:4], v2, s[26:27] offset:40
	global_load_dwordx2 v[10:11], v2, s[26:27]
	v_mov_b32_e32 v5, v8
	v_mov_b32_e32 v6, v9
	s_waitcnt vmcnt(1)
	v_and_b32_e32 v3, v3, v5
	v_and_b32_e32 v4, v4, v6
	s_waitcnt vmcnt(0)
	v_mad_u64_u32 v[7:8], null, v3, 24, v[10:11]
	v_mov_b32_e32 v3, v8
	v_mad_u64_u32 v[3:4], null, v4, 24, v[3:4]
	v_mov_b32_e32 v8, v3
	global_load_dwordx2 v[3:4], v[7:8], off glc dlc
	s_waitcnt vmcnt(0)
	global_atomic_cmpswap_x2 v[8:9], v2, v[3:6], s[26:27] offset:24 glc
	s_waitcnt vmcnt(0)
	buffer_gl1_inv
	buffer_gl0_inv
	v_cmp_eq_u64_e32 vcc_lo, v[8:9], v[5:6]
	s_or_b32 s7, vcc_lo, s7
	s_andn2_b32 exec_lo, exec_lo, s7
	s_cbranch_execnz .LBB4_1092
; %bb.1093:
	s_or_b32 exec_lo, exec_lo, s7
.LBB4_1094:
	s_or_b32 exec_lo, exec_lo, s6
.LBB4_1095:
	s_or_b32 exec_lo, exec_lo, s5
	s_waitcnt vmcnt(0)
	v_mov_b32_e32 v2, 0
	v_readfirstlane_b32 s6, v8
	v_readfirstlane_b32 s7, v9
	s_mov_b32 s5, exec_lo
	s_clause 0x1
	global_load_dwordx2 v[10:11], v2, s[26:27] offset:40
	global_load_dwordx4 v[4:7], v2, s[26:27]
	s_waitcnt vmcnt(1)
	v_readfirstlane_b32 s10, v10
	v_readfirstlane_b32 s11, v11
	s_and_b64 s[10:11], s[6:7], s[10:11]
	s_mul_i32 s16, s11, 24
	s_mul_hi_u32 s17, s10, 24
	s_mul_i32 s18, s10, 24
	s_add_i32 s17, s17, s16
	s_waitcnt vmcnt(0)
	v_add_co_u32 v8, vcc_lo, v4, s18
	v_add_co_ci_u32_e32 v9, vcc_lo, s17, v5, vcc_lo
	s_and_saveexec_b32 s16, s4
	s_cbranch_execz .LBB4_1097
; %bb.1096:
	v_mov_b32_e32 v10, s5
	v_mov_b32_e32 v11, v2
	;; [unrolled: 1-line block ×4, first 2 shown]
	global_store_dwordx4 v[8:9], v[10:13], off offset:8
.LBB4_1097:
	s_or_b32 exec_lo, exec_lo, s16
	s_lshl_b64 s[10:11], s[10:11], 12
	s_mov_b32 s16, 0
	v_add_co_u32 v6, vcc_lo, v6, s10
	v_add_co_ci_u32_e32 v7, vcc_lo, s11, v7, vcc_lo
	s_mov_b32 s17, s16
	v_readfirstlane_b32 s10, v6
	v_add_co_u32 v6, vcc_lo, v6, v39
	s_mov_b32 s18, s16
	s_mov_b32 s19, s16
	v_and_or_b32 v0, 0xffffff1f, v0, 32
	v_mov_b32_e32 v3, v2
	v_readfirstlane_b32 s11, v7
	v_mov_b32_e32 v10, s16
	v_add_co_ci_u32_e32 v7, vcc_lo, 0, v7, vcc_lo
	v_mov_b32_e32 v11, s17
	v_mov_b32_e32 v12, s18
	;; [unrolled: 1-line block ×3, first 2 shown]
	global_store_dwordx4 v39, v[0:3], s[10:11]
	global_store_dwordx4 v39, v[10:13], s[10:11] offset:16
	global_store_dwordx4 v39, v[10:13], s[10:11] offset:32
	;; [unrolled: 1-line block ×3, first 2 shown]
	s_and_saveexec_b32 s5, s4
	s_cbranch_execz .LBB4_1105
; %bb.1098:
	v_mov_b32_e32 v10, 0
	v_mov_b32_e32 v11, s6
	;; [unrolled: 1-line block ×3, first 2 shown]
	s_clause 0x1
	global_load_dwordx2 v[13:14], v10, s[26:27] offset:32 glc dlc
	global_load_dwordx2 v[0:1], v10, s[26:27] offset:40
	s_waitcnt vmcnt(0)
	v_readfirstlane_b32 s10, v0
	v_readfirstlane_b32 s11, v1
	s_and_b64 s[10:11], s[10:11], s[6:7]
	s_mul_i32 s11, s11, 24
	s_mul_hi_u32 s16, s10, 24
	s_mul_i32 s10, s10, 24
	s_add_i32 s16, s16, s11
	v_add_co_u32 v4, vcc_lo, v4, s10
	v_add_co_ci_u32_e32 v5, vcc_lo, s16, v5, vcc_lo
	s_mov_b32 s10, exec_lo
	global_store_dwordx2 v[4:5], v[13:14], off
	s_waitcnt_vscnt null, 0x0
	global_atomic_cmpswap_x2 v[2:3], v10, v[11:14], s[26:27] offset:32 glc
	s_waitcnt vmcnt(0)
	v_cmpx_ne_u64_e64 v[2:3], v[13:14]
	s_cbranch_execz .LBB4_1101
; %bb.1099:
	s_mov_b32 s11, 0
.LBB4_1100:                             ; =>This Inner Loop Header: Depth=1
	v_mov_b32_e32 v0, s6
	v_mov_b32_e32 v1, s7
	s_sleep 1
	global_store_dwordx2 v[4:5], v[2:3], off
	s_waitcnt_vscnt null, 0x0
	global_atomic_cmpswap_x2 v[0:1], v10, v[0:3], s[26:27] offset:32 glc
	s_waitcnt vmcnt(0)
	v_cmp_eq_u64_e32 vcc_lo, v[0:1], v[2:3]
	v_mov_b32_e32 v3, v1
	v_mov_b32_e32 v2, v0
	s_or_b32 s11, vcc_lo, s11
	s_andn2_b32 exec_lo, exec_lo, s11
	s_cbranch_execnz .LBB4_1100
.LBB4_1101:
	s_or_b32 exec_lo, exec_lo, s10
	v_mov_b32_e32 v3, 0
	s_mov_b32 s11, exec_lo
	s_mov_b32 s10, exec_lo
	v_mbcnt_lo_u32_b32 v2, s11, 0
	global_load_dwordx2 v[0:1], v3, s[26:27] offset:16
	v_cmpx_eq_u32_e32 0, v2
	s_cbranch_execz .LBB4_1103
; %bb.1102:
	s_bcnt1_i32_b32 s11, s11
	v_mov_b32_e32 v2, s11
	s_waitcnt vmcnt(0)
	global_atomic_add_x2 v[0:1], v[2:3], off offset:8
.LBB4_1103:
	s_or_b32 exec_lo, exec_lo, s10
	s_waitcnt vmcnt(0)
	global_load_dwordx2 v[2:3], v[0:1], off offset:16
	s_waitcnt vmcnt(0)
	v_cmp_eq_u64_e32 vcc_lo, 0, v[2:3]
	s_cbranch_vccnz .LBB4_1105
; %bb.1104:
	global_load_dword v0, v[0:1], off offset:24
	v_mov_b32_e32 v1, 0
	s_waitcnt vmcnt(0)
	v_and_b32_e32 v4, 0x7fffff, v0
	s_waitcnt_vscnt null, 0x0
	global_store_dwordx2 v[2:3], v[0:1], off
	v_readfirstlane_b32 m0, v4
	s_sendmsg sendmsg(MSG_INTERRUPT)
.LBB4_1105:
	s_or_b32 exec_lo, exec_lo, s5
	s_branch .LBB4_1109
	.p2align	6
.LBB4_1106:                             ;   in Loop: Header=BB4_1109 Depth=1
	s_or_b32 exec_lo, exec_lo, s5
	v_readfirstlane_b32 s5, v0
	s_cmp_eq_u32 s5, 0
	s_cbranch_scc1 .LBB4_1108
; %bb.1107:                             ;   in Loop: Header=BB4_1109 Depth=1
	s_sleep 1
	s_cbranch_execnz .LBB4_1109
	s_branch .LBB4_1111
	.p2align	6
.LBB4_1108:
	s_branch .LBB4_1111
.LBB4_1109:                             ; =>This Inner Loop Header: Depth=1
	v_mov_b32_e32 v0, 1
	s_and_saveexec_b32 s5, s4
	s_cbranch_execz .LBB4_1106
; %bb.1110:                             ;   in Loop: Header=BB4_1109 Depth=1
	global_load_dword v0, v[8:9], off offset:20 glc dlc
	s_waitcnt vmcnt(0)
	buffer_gl1_inv
	buffer_gl0_inv
	v_and_b32_e32 v0, 1, v0
	s_branch .LBB4_1106
.LBB4_1111:
	global_load_dwordx2 v[2:3], v[6:7], off
	s_and_saveexec_b32 s5, s4
	s_cbranch_execz .LBB4_1115
; %bb.1112:
	v_mov_b32_e32 v8, 0
	s_clause 0x2
	global_load_dwordx2 v[0:1], v8, s[26:27] offset:40
	global_load_dwordx2 v[9:10], v8, s[26:27] offset:24 glc dlc
	global_load_dwordx2 v[6:7], v8, s[26:27]
	s_waitcnt vmcnt(2)
	v_add_co_u32 v11, vcc_lo, v0, 1
	v_add_co_ci_u32_e32 v12, vcc_lo, 0, v1, vcc_lo
	v_add_co_u32 v4, vcc_lo, v11, s6
	v_add_co_ci_u32_e32 v5, vcc_lo, s7, v12, vcc_lo
	v_cmp_eq_u64_e32 vcc_lo, 0, v[4:5]
	v_cndmask_b32_e32 v5, v5, v12, vcc_lo
	v_cndmask_b32_e32 v4, v4, v11, vcc_lo
	v_and_b32_e32 v1, v5, v1
	v_and_b32_e32 v0, v4, v0
	v_mul_lo_u32 v1, v1, 24
	v_mul_hi_u32 v11, v0, 24
	v_mul_lo_u32 v0, v0, 24
	v_add_nc_u32_e32 v1, v11, v1
	s_waitcnt vmcnt(0)
	v_add_co_u32 v0, vcc_lo, v6, v0
	v_mov_b32_e32 v6, v9
	v_add_co_ci_u32_e32 v1, vcc_lo, v7, v1, vcc_lo
	v_mov_b32_e32 v7, v10
	global_store_dwordx2 v[0:1], v[9:10], off
	s_waitcnt_vscnt null, 0x0
	global_atomic_cmpswap_x2 v[6:7], v8, v[4:7], s[26:27] offset:24 glc
	s_waitcnt vmcnt(0)
	v_cmp_ne_u64_e32 vcc_lo, v[6:7], v[9:10]
	s_and_b32 exec_lo, exec_lo, vcc_lo
	s_cbranch_execz .LBB4_1115
; %bb.1113:
	s_mov_b32 s4, 0
.LBB4_1114:                             ; =>This Inner Loop Header: Depth=1
	s_sleep 1
	global_store_dwordx2 v[0:1], v[6:7], off
	s_waitcnt_vscnt null, 0x0
	global_atomic_cmpswap_x2 v[9:10], v8, v[4:7], s[26:27] offset:24 glc
	s_waitcnt vmcnt(0)
	v_cmp_eq_u64_e32 vcc_lo, v[9:10], v[6:7]
	v_mov_b32_e32 v6, v9
	v_mov_b32_e32 v7, v10
	s_or_b32 s4, vcc_lo, s4
	s_andn2_b32 exec_lo, exec_lo, s4
	s_cbranch_execnz .LBB4_1114
.LBB4_1115:
	s_or_b32 exec_lo, exec_lo, s5
.LBB4_1116:
	v_readfirstlane_b32 s4, v50
	s_waitcnt vmcnt(0)
	v_mov_b32_e32 v0, 0
	v_mov_b32_e32 v1, 0
	v_cmp_eq_u32_e64 s4, s4, v50
	s_and_saveexec_b32 s5, s4
	s_cbranch_execz .LBB4_1122
; %bb.1117:
	v_mov_b32_e32 v4, 0
	s_mov_b32 s6, exec_lo
	global_load_dwordx2 v[7:8], v4, s[26:27] offset:24 glc dlc
	s_waitcnt vmcnt(0)
	buffer_gl1_inv
	buffer_gl0_inv
	s_clause 0x1
	global_load_dwordx2 v[0:1], v4, s[26:27] offset:40
	global_load_dwordx2 v[5:6], v4, s[26:27]
	s_waitcnt vmcnt(1)
	v_and_b32_e32 v1, v1, v8
	v_and_b32_e32 v0, v0, v7
	v_mul_lo_u32 v1, v1, 24
	v_mul_hi_u32 v9, v0, 24
	v_mul_lo_u32 v0, v0, 24
	v_add_nc_u32_e32 v1, v9, v1
	s_waitcnt vmcnt(0)
	v_add_co_u32 v0, vcc_lo, v5, v0
	v_add_co_ci_u32_e32 v1, vcc_lo, v6, v1, vcc_lo
	global_load_dwordx2 v[5:6], v[0:1], off glc dlc
	s_waitcnt vmcnt(0)
	global_atomic_cmpswap_x2 v[0:1], v4, v[5:8], s[26:27] offset:24 glc
	s_waitcnt vmcnt(0)
	buffer_gl1_inv
	buffer_gl0_inv
	v_cmpx_ne_u64_e64 v[0:1], v[7:8]
	s_cbranch_execz .LBB4_1121
; %bb.1118:
	s_mov_b32 s7, 0
	.p2align	6
.LBB4_1119:                             ; =>This Inner Loop Header: Depth=1
	s_sleep 1
	s_clause 0x1
	global_load_dwordx2 v[5:6], v4, s[26:27] offset:40
	global_load_dwordx2 v[9:10], v4, s[26:27]
	v_mov_b32_e32 v8, v1
	v_mov_b32_e32 v7, v0
	s_waitcnt vmcnt(1)
	v_and_b32_e32 v0, v5, v7
	v_and_b32_e32 v5, v6, v8
	s_waitcnt vmcnt(0)
	v_mad_u64_u32 v[0:1], null, v0, 24, v[9:10]
	v_mad_u64_u32 v[5:6], null, v5, 24, v[1:2]
	v_mov_b32_e32 v1, v5
	global_load_dwordx2 v[5:6], v[0:1], off glc dlc
	s_waitcnt vmcnt(0)
	global_atomic_cmpswap_x2 v[0:1], v4, v[5:8], s[26:27] offset:24 glc
	s_waitcnt vmcnt(0)
	buffer_gl1_inv
	buffer_gl0_inv
	v_cmp_eq_u64_e32 vcc_lo, v[0:1], v[7:8]
	s_or_b32 s7, vcc_lo, s7
	s_andn2_b32 exec_lo, exec_lo, s7
	s_cbranch_execnz .LBB4_1119
; %bb.1120:
	s_or_b32 exec_lo, exec_lo, s7
.LBB4_1121:
	s_or_b32 exec_lo, exec_lo, s6
.LBB4_1122:
	s_or_b32 exec_lo, exec_lo, s5
	v_mov_b32_e32 v5, 0
	v_readfirstlane_b32 s6, v0
	v_readfirstlane_b32 s7, v1
	s_mov_b32 s5, exec_lo
	s_clause 0x1
	global_load_dwordx2 v[10:11], v5, s[26:27] offset:40
	global_load_dwordx4 v[6:9], v5, s[26:27]
	s_waitcnt vmcnt(1)
	v_readfirstlane_b32 s10, v10
	v_readfirstlane_b32 s11, v11
	s_and_b64 s[10:11], s[6:7], s[10:11]
	s_mul_i32 s16, s11, 24
	s_mul_hi_u32 s17, s10, 24
	s_mul_i32 s18, s10, 24
	s_add_i32 s17, s17, s16
	s_waitcnt vmcnt(0)
	v_add_co_u32 v10, vcc_lo, v6, s18
	v_add_co_ci_u32_e32 v11, vcc_lo, s17, v7, vcc_lo
	s_and_saveexec_b32 s16, s4
	s_cbranch_execz .LBB4_1124
; %bb.1123:
	v_mov_b32_e32 v4, s5
	v_mov_b32_e32 v13, v5
	;; [unrolled: 1-line block ×5, first 2 shown]
	global_store_dwordx4 v[10:11], v[12:15], off offset:8
.LBB4_1124:
	s_or_b32 exec_lo, exec_lo, s16
	s_lshl_b64 s[10:11], s[10:11], 12
	s_mov_b32 s16, 0
	v_add_co_u32 v0, vcc_lo, v8, s10
	v_add_co_ci_u32_e32 v1, vcc_lo, s11, v9, vcc_lo
	s_mov_b32 s17, s16
	s_mov_b32 s18, s16
	;; [unrolled: 1-line block ×3, first 2 shown]
	v_and_or_b32 v2, 0xffffff1d, v2, 34
	v_mov_b32_e32 v4, 58
	v_readfirstlane_b32 s10, v0
	v_readfirstlane_b32 s11, v1
	v_mov_b32_e32 v12, s16
	v_mov_b32_e32 v13, s17
	;; [unrolled: 1-line block ×4, first 2 shown]
	global_store_dwordx4 v39, v[2:5], s[10:11]
	global_store_dwordx4 v39, v[12:15], s[10:11] offset:16
	global_store_dwordx4 v39, v[12:15], s[10:11] offset:32
	;; [unrolled: 1-line block ×3, first 2 shown]
	s_and_saveexec_b32 s5, s4
	s_cbranch_execz .LBB4_1132
; %bb.1125:
	v_mov_b32_e32 v8, 0
	v_mov_b32_e32 v12, s6
	;; [unrolled: 1-line block ×3, first 2 shown]
	s_clause 0x1
	global_load_dwordx2 v[14:15], v8, s[26:27] offset:32 glc dlc
	global_load_dwordx2 v[0:1], v8, s[26:27] offset:40
	s_waitcnt vmcnt(0)
	v_readfirstlane_b32 s10, v0
	v_readfirstlane_b32 s11, v1
	s_and_b64 s[10:11], s[10:11], s[6:7]
	s_mul_i32 s11, s11, 24
	s_mul_hi_u32 s16, s10, 24
	s_mul_i32 s10, s10, 24
	s_add_i32 s16, s16, s11
	v_add_co_u32 v4, vcc_lo, v6, s10
	v_add_co_ci_u32_e32 v5, vcc_lo, s16, v7, vcc_lo
	s_mov_b32 s10, exec_lo
	global_store_dwordx2 v[4:5], v[14:15], off
	s_waitcnt_vscnt null, 0x0
	global_atomic_cmpswap_x2 v[2:3], v8, v[12:15], s[26:27] offset:32 glc
	s_waitcnt vmcnt(0)
	v_cmpx_ne_u64_e64 v[2:3], v[14:15]
	s_cbranch_execz .LBB4_1128
; %bb.1126:
	s_mov_b32 s11, 0
.LBB4_1127:                             ; =>This Inner Loop Header: Depth=1
	v_mov_b32_e32 v0, s6
	v_mov_b32_e32 v1, s7
	s_sleep 1
	global_store_dwordx2 v[4:5], v[2:3], off
	s_waitcnt_vscnt null, 0x0
	global_atomic_cmpswap_x2 v[0:1], v8, v[0:3], s[26:27] offset:32 glc
	s_waitcnt vmcnt(0)
	v_cmp_eq_u64_e32 vcc_lo, v[0:1], v[2:3]
	v_mov_b32_e32 v3, v1
	v_mov_b32_e32 v2, v0
	s_or_b32 s11, vcc_lo, s11
	s_andn2_b32 exec_lo, exec_lo, s11
	s_cbranch_execnz .LBB4_1127
.LBB4_1128:
	s_or_b32 exec_lo, exec_lo, s10
	v_mov_b32_e32 v3, 0
	s_mov_b32 s11, exec_lo
	s_mov_b32 s10, exec_lo
	v_mbcnt_lo_u32_b32 v2, s11, 0
	global_load_dwordx2 v[0:1], v3, s[26:27] offset:16
	v_cmpx_eq_u32_e32 0, v2
	s_cbranch_execz .LBB4_1130
; %bb.1129:
	s_bcnt1_i32_b32 s11, s11
	v_mov_b32_e32 v2, s11
	s_waitcnt vmcnt(0)
	global_atomic_add_x2 v[0:1], v[2:3], off offset:8
.LBB4_1130:
	s_or_b32 exec_lo, exec_lo, s10
	s_waitcnt vmcnt(0)
	global_load_dwordx2 v[2:3], v[0:1], off offset:16
	s_waitcnt vmcnt(0)
	v_cmp_eq_u64_e32 vcc_lo, 0, v[2:3]
	s_cbranch_vccnz .LBB4_1132
; %bb.1131:
	global_load_dword v0, v[0:1], off offset:24
	v_mov_b32_e32 v1, 0
	s_waitcnt vmcnt(0)
	v_and_b32_e32 v4, 0x7fffff, v0
	s_waitcnt_vscnt null, 0x0
	global_store_dwordx2 v[2:3], v[0:1], off
	v_readfirstlane_b32 m0, v4
	s_sendmsg sendmsg(MSG_INTERRUPT)
.LBB4_1132:
	s_or_b32 exec_lo, exec_lo, s5
	s_branch .LBB4_1136
	.p2align	6
.LBB4_1133:                             ;   in Loop: Header=BB4_1136 Depth=1
	s_or_b32 exec_lo, exec_lo, s5
	v_readfirstlane_b32 s5, v0
	s_cmp_eq_u32 s5, 0
	s_cbranch_scc1 .LBB4_1135
; %bb.1134:                             ;   in Loop: Header=BB4_1136 Depth=1
	s_sleep 1
	s_cbranch_execnz .LBB4_1136
	s_branch .LBB4_1138
	.p2align	6
.LBB4_1135:
	s_branch .LBB4_1138
.LBB4_1136:                             ; =>This Inner Loop Header: Depth=1
	v_mov_b32_e32 v0, 1
	s_and_saveexec_b32 s5, s4
	s_cbranch_execz .LBB4_1133
; %bb.1137:                             ;   in Loop: Header=BB4_1136 Depth=1
	global_load_dword v0, v[10:11], off offset:20 glc dlc
	s_waitcnt vmcnt(0)
	buffer_gl1_inv
	buffer_gl0_inv
	v_and_b32_e32 v0, 1, v0
	s_branch .LBB4_1133
.LBB4_1138:
	s_and_saveexec_b32 s5, s4
	s_cbranch_execz .LBB4_1142
; %bb.1139:
	v_mov_b32_e32 v6, 0
	s_clause 0x2
	global_load_dwordx2 v[2:3], v6, s[26:27] offset:40
	global_load_dwordx2 v[7:8], v6, s[26:27] offset:24 glc dlc
	global_load_dwordx2 v[4:5], v6, s[26:27]
	s_waitcnt vmcnt(2)
	v_add_co_u32 v9, vcc_lo, v2, 1
	v_add_co_ci_u32_e32 v10, vcc_lo, 0, v3, vcc_lo
	v_add_co_u32 v0, vcc_lo, v9, s6
	v_add_co_ci_u32_e32 v1, vcc_lo, s7, v10, vcc_lo
	v_cmp_eq_u64_e32 vcc_lo, 0, v[0:1]
	v_cndmask_b32_e32 v1, v1, v10, vcc_lo
	v_cndmask_b32_e32 v0, v0, v9, vcc_lo
	v_and_b32_e32 v3, v1, v3
	v_and_b32_e32 v2, v0, v2
	v_mul_lo_u32 v3, v3, 24
	v_mul_hi_u32 v9, v2, 24
	v_mul_lo_u32 v2, v2, 24
	v_add_nc_u32_e32 v3, v9, v3
	s_waitcnt vmcnt(0)
	v_add_co_u32 v4, vcc_lo, v4, v2
	v_mov_b32_e32 v2, v7
	v_add_co_ci_u32_e32 v5, vcc_lo, v5, v3, vcc_lo
	v_mov_b32_e32 v3, v8
	global_store_dwordx2 v[4:5], v[7:8], off
	s_waitcnt_vscnt null, 0x0
	global_atomic_cmpswap_x2 v[2:3], v6, v[0:3], s[26:27] offset:24 glc
	s_waitcnt vmcnt(0)
	v_cmp_ne_u64_e32 vcc_lo, v[2:3], v[7:8]
	s_and_b32 exec_lo, exec_lo, vcc_lo
	s_cbranch_execz .LBB4_1142
; %bb.1140:
	s_mov_b32 s4, 0
.LBB4_1141:                             ; =>This Inner Loop Header: Depth=1
	s_sleep 1
	global_store_dwordx2 v[4:5], v[2:3], off
	s_waitcnt_vscnt null, 0x0
	global_atomic_cmpswap_x2 v[7:8], v6, v[0:3], s[26:27] offset:24 glc
	s_waitcnt vmcnt(0)
	v_cmp_eq_u64_e32 vcc_lo, v[7:8], v[2:3]
	v_mov_b32_e32 v2, v7
	v_mov_b32_e32 v3, v8
	s_or_b32 s4, vcc_lo, s4
	s_andn2_b32 exec_lo, exec_lo, s4
	s_cbranch_execnz .LBB4_1141
.LBB4_1142:
	s_or_b32 exec_lo, exec_lo, s5
	v_readfirstlane_b32 s4, v50
	v_mov_b32_e32 v6, 0
	v_mov_b32_e32 v7, 0
	v_cmp_eq_u32_e64 s4, s4, v50
	s_and_saveexec_b32 s5, s4
	s_cbranch_execz .LBB4_1148
; %bb.1143:
	v_mov_b32_e32 v0, 0
	s_mov_b32 s6, exec_lo
	global_load_dwordx2 v[3:4], v0, s[26:27] offset:24 glc dlc
	s_waitcnt vmcnt(0)
	buffer_gl1_inv
	buffer_gl0_inv
	s_clause 0x1
	global_load_dwordx2 v[1:2], v0, s[26:27] offset:40
	global_load_dwordx2 v[5:6], v0, s[26:27]
	s_waitcnt vmcnt(1)
	v_and_b32_e32 v2, v2, v4
	v_and_b32_e32 v1, v1, v3
	v_mul_lo_u32 v2, v2, 24
	v_mul_hi_u32 v7, v1, 24
	v_mul_lo_u32 v1, v1, 24
	v_add_nc_u32_e32 v2, v7, v2
	s_waitcnt vmcnt(0)
	v_add_co_u32 v1, vcc_lo, v5, v1
	v_add_co_ci_u32_e32 v2, vcc_lo, v6, v2, vcc_lo
	global_load_dwordx2 v[1:2], v[1:2], off glc dlc
	s_waitcnt vmcnt(0)
	global_atomic_cmpswap_x2 v[6:7], v0, v[1:4], s[26:27] offset:24 glc
	s_waitcnt vmcnt(0)
	buffer_gl1_inv
	buffer_gl0_inv
	v_cmpx_ne_u64_e64 v[6:7], v[3:4]
	s_cbranch_execz .LBB4_1147
; %bb.1144:
	s_mov_b32 s7, 0
	.p2align	6
.LBB4_1145:                             ; =>This Inner Loop Header: Depth=1
	s_sleep 1
	s_clause 0x1
	global_load_dwordx2 v[1:2], v0, s[26:27] offset:40
	global_load_dwordx2 v[8:9], v0, s[26:27]
	v_mov_b32_e32 v3, v6
	v_mov_b32_e32 v4, v7
	s_waitcnt vmcnt(1)
	v_and_b32_e32 v1, v1, v3
	v_and_b32_e32 v2, v2, v4
	s_waitcnt vmcnt(0)
	v_mad_u64_u32 v[5:6], null, v1, 24, v[8:9]
	v_mov_b32_e32 v1, v6
	v_mad_u64_u32 v[1:2], null, v2, 24, v[1:2]
	v_mov_b32_e32 v6, v1
	global_load_dwordx2 v[1:2], v[5:6], off glc dlc
	s_waitcnt vmcnt(0)
	global_atomic_cmpswap_x2 v[6:7], v0, v[1:4], s[26:27] offset:24 glc
	s_waitcnt vmcnt(0)
	buffer_gl1_inv
	buffer_gl0_inv
	v_cmp_eq_u64_e32 vcc_lo, v[6:7], v[3:4]
	s_or_b32 s7, vcc_lo, s7
	s_andn2_b32 exec_lo, exec_lo, s7
	s_cbranch_execnz .LBB4_1145
; %bb.1146:
	s_or_b32 exec_lo, exec_lo, s7
.LBB4_1147:
	s_or_b32 exec_lo, exec_lo, s6
.LBB4_1148:
	s_or_b32 exec_lo, exec_lo, s5
	v_mov_b32_e32 v5, 0
	v_readfirstlane_b32 s6, v6
	v_readfirstlane_b32 s7, v7
	s_mov_b32 s5, exec_lo
	s_clause 0x1
	global_load_dwordx2 v[8:9], v5, s[26:27] offset:40
	global_load_dwordx4 v[0:3], v5, s[26:27]
	s_waitcnt vmcnt(1)
	v_readfirstlane_b32 s10, v8
	v_readfirstlane_b32 s11, v9
	s_and_b64 s[10:11], s[6:7], s[10:11]
	s_mul_i32 s16, s11, 24
	s_mul_hi_u32 s17, s10, 24
	s_mul_i32 s18, s10, 24
	s_add_i32 s17, s17, s16
	s_waitcnt vmcnt(0)
	v_add_co_u32 v8, vcc_lo, v0, s18
	v_add_co_ci_u32_e32 v9, vcc_lo, s17, v1, vcc_lo
	s_and_saveexec_b32 s16, s4
	s_cbranch_execz .LBB4_1150
; %bb.1149:
	v_mov_b32_e32 v4, s5
	v_mov_b32_e32 v6, 2
	;; [unrolled: 1-line block ×3, first 2 shown]
	global_store_dwordx4 v[8:9], v[4:7], off offset:8
.LBB4_1150:
	s_or_b32 exec_lo, exec_lo, s16
	s_lshl_b64 s[10:11], s[10:11], 12
	s_mov_b32 s16, 0
	v_add_co_u32 v2, vcc_lo, v2, s10
	v_add_co_ci_u32_e32 v3, vcc_lo, s11, v3, vcc_lo
	s_mov_b32 s17, s16
	v_add_co_u32 v10, vcc_lo, v2, v39
	s_mov_b32 s18, s16
	s_mov_b32 s19, s16
	v_mov_b32_e32 v4, 33
	v_mov_b32_e32 v6, v5
	;; [unrolled: 1-line block ×3, first 2 shown]
	v_readfirstlane_b32 s10, v2
	v_readfirstlane_b32 s11, v3
	v_mov_b32_e32 v12, s16
	v_add_co_ci_u32_e32 v11, vcc_lo, 0, v3, vcc_lo
	v_mov_b32_e32 v13, s17
	v_mov_b32_e32 v14, s18
	;; [unrolled: 1-line block ×3, first 2 shown]
	global_store_dwordx4 v39, v[4:7], s[10:11]
	global_store_dwordx4 v39, v[12:15], s[10:11] offset:16
	global_store_dwordx4 v39, v[12:15], s[10:11] offset:32
	;; [unrolled: 1-line block ×3, first 2 shown]
	s_and_saveexec_b32 s5, s4
	s_cbranch_execz .LBB4_1158
; %bb.1151:
	v_mov_b32_e32 v6, 0
	v_mov_b32_e32 v12, s6
	;; [unrolled: 1-line block ×3, first 2 shown]
	s_clause 0x1
	global_load_dwordx2 v[14:15], v6, s[26:27] offset:32 glc dlc
	global_load_dwordx2 v[2:3], v6, s[26:27] offset:40
	s_waitcnt vmcnt(0)
	v_readfirstlane_b32 s10, v2
	v_readfirstlane_b32 s11, v3
	s_and_b64 s[10:11], s[10:11], s[6:7]
	s_mul_i32 s11, s11, 24
	s_mul_hi_u32 s16, s10, 24
	s_mul_i32 s10, s10, 24
	s_add_i32 s16, s16, s11
	v_add_co_u32 v4, vcc_lo, v0, s10
	v_add_co_ci_u32_e32 v5, vcc_lo, s16, v1, vcc_lo
	s_mov_b32 s10, exec_lo
	global_store_dwordx2 v[4:5], v[14:15], off
	s_waitcnt_vscnt null, 0x0
	global_atomic_cmpswap_x2 v[2:3], v6, v[12:15], s[26:27] offset:32 glc
	s_waitcnt vmcnt(0)
	v_cmpx_ne_u64_e64 v[2:3], v[14:15]
	s_cbranch_execz .LBB4_1154
; %bb.1152:
	s_mov_b32 s11, 0
.LBB4_1153:                             ; =>This Inner Loop Header: Depth=1
	v_mov_b32_e32 v0, s6
	v_mov_b32_e32 v1, s7
	s_sleep 1
	global_store_dwordx2 v[4:5], v[2:3], off
	s_waitcnt_vscnt null, 0x0
	global_atomic_cmpswap_x2 v[0:1], v6, v[0:3], s[26:27] offset:32 glc
	s_waitcnt vmcnt(0)
	v_cmp_eq_u64_e32 vcc_lo, v[0:1], v[2:3]
	v_mov_b32_e32 v3, v1
	v_mov_b32_e32 v2, v0
	s_or_b32 s11, vcc_lo, s11
	s_andn2_b32 exec_lo, exec_lo, s11
	s_cbranch_execnz .LBB4_1153
.LBB4_1154:
	s_or_b32 exec_lo, exec_lo, s10
	v_mov_b32_e32 v3, 0
	s_mov_b32 s11, exec_lo
	s_mov_b32 s10, exec_lo
	v_mbcnt_lo_u32_b32 v2, s11, 0
	global_load_dwordx2 v[0:1], v3, s[26:27] offset:16
	v_cmpx_eq_u32_e32 0, v2
	s_cbranch_execz .LBB4_1156
; %bb.1155:
	s_bcnt1_i32_b32 s11, s11
	v_mov_b32_e32 v2, s11
	s_waitcnt vmcnt(0)
	global_atomic_add_x2 v[0:1], v[2:3], off offset:8
.LBB4_1156:
	s_or_b32 exec_lo, exec_lo, s10
	s_waitcnt vmcnt(0)
	global_load_dwordx2 v[2:3], v[0:1], off offset:16
	s_waitcnt vmcnt(0)
	v_cmp_eq_u64_e32 vcc_lo, 0, v[2:3]
	s_cbranch_vccnz .LBB4_1158
; %bb.1157:
	global_load_dword v0, v[0:1], off offset:24
	v_mov_b32_e32 v1, 0
	s_waitcnt vmcnt(0)
	v_and_b32_e32 v4, 0x7fffff, v0
	s_waitcnt_vscnt null, 0x0
	global_store_dwordx2 v[2:3], v[0:1], off
	v_readfirstlane_b32 m0, v4
	s_sendmsg sendmsg(MSG_INTERRUPT)
.LBB4_1158:
	s_or_b32 exec_lo, exec_lo, s5
	s_branch .LBB4_1162
	.p2align	6
.LBB4_1159:                             ;   in Loop: Header=BB4_1162 Depth=1
	s_or_b32 exec_lo, exec_lo, s5
	v_readfirstlane_b32 s5, v0
	s_cmp_eq_u32 s5, 0
	s_cbranch_scc1 .LBB4_1161
; %bb.1160:                             ;   in Loop: Header=BB4_1162 Depth=1
	s_sleep 1
	s_cbranch_execnz .LBB4_1162
	s_branch .LBB4_1164
	.p2align	6
.LBB4_1161:
	s_branch .LBB4_1164
.LBB4_1162:                             ; =>This Inner Loop Header: Depth=1
	v_mov_b32_e32 v0, 1
	s_and_saveexec_b32 s5, s4
	s_cbranch_execz .LBB4_1159
; %bb.1163:                             ;   in Loop: Header=BB4_1162 Depth=1
	global_load_dword v0, v[8:9], off offset:20 glc dlc
	s_waitcnt vmcnt(0)
	buffer_gl1_inv
	buffer_gl0_inv
	v_and_b32_e32 v0, 1, v0
	s_branch .LBB4_1159
.LBB4_1164:
	global_load_dwordx2 v[0:1], v[10:11], off
	s_and_saveexec_b32 s5, s4
	s_cbranch_execz .LBB4_1168
; %bb.1165:
	v_mov_b32_e32 v8, 0
	s_clause 0x2
	global_load_dwordx2 v[4:5], v8, s[26:27] offset:40
	global_load_dwordx2 v[9:10], v8, s[26:27] offset:24 glc dlc
	global_load_dwordx2 v[6:7], v8, s[26:27]
	s_waitcnt vmcnt(2)
	v_add_co_u32 v11, vcc_lo, v4, 1
	v_add_co_ci_u32_e32 v12, vcc_lo, 0, v5, vcc_lo
	v_add_co_u32 v2, vcc_lo, v11, s6
	v_add_co_ci_u32_e32 v3, vcc_lo, s7, v12, vcc_lo
	v_cmp_eq_u64_e32 vcc_lo, 0, v[2:3]
	v_cndmask_b32_e32 v3, v3, v12, vcc_lo
	v_cndmask_b32_e32 v2, v2, v11, vcc_lo
	v_and_b32_e32 v5, v3, v5
	v_and_b32_e32 v4, v2, v4
	v_mul_lo_u32 v5, v5, 24
	v_mul_hi_u32 v11, v4, 24
	v_mul_lo_u32 v4, v4, 24
	v_add_nc_u32_e32 v5, v11, v5
	s_waitcnt vmcnt(0)
	v_add_co_u32 v6, vcc_lo, v6, v4
	v_mov_b32_e32 v4, v9
	v_add_co_ci_u32_e32 v7, vcc_lo, v7, v5, vcc_lo
	v_mov_b32_e32 v5, v10
	global_store_dwordx2 v[6:7], v[9:10], off
	s_waitcnt_vscnt null, 0x0
	global_atomic_cmpswap_x2 v[4:5], v8, v[2:5], s[26:27] offset:24 glc
	s_waitcnt vmcnt(0)
	v_cmp_ne_u64_e32 vcc_lo, v[4:5], v[9:10]
	s_and_b32 exec_lo, exec_lo, vcc_lo
	s_cbranch_execz .LBB4_1168
; %bb.1166:
	s_mov_b32 s4, 0
.LBB4_1167:                             ; =>This Inner Loop Header: Depth=1
	s_sleep 1
	global_store_dwordx2 v[6:7], v[4:5], off
	s_waitcnt_vscnt null, 0x0
	global_atomic_cmpswap_x2 v[9:10], v8, v[2:5], s[26:27] offset:24 glc
	s_waitcnt vmcnt(0)
	v_cmp_eq_u64_e32 vcc_lo, v[9:10], v[4:5]
	v_mov_b32_e32 v4, v9
	v_mov_b32_e32 v5, v10
	s_or_b32 s4, vcc_lo, s4
	s_andn2_b32 exec_lo, exec_lo, s4
	s_cbranch_execnz .LBB4_1167
.LBB4_1168:
	s_or_b32 exec_lo, exec_lo, s5
	s_and_b32 vcc_lo, exec_lo, s35
	s_cbranch_vccz .LBB4_1247
; %bb.1169:
	s_waitcnt vmcnt(0)
	v_and_b32_e32 v31, 2, v0
	v_mov_b32_e32 v6, 0
	v_and_b32_e32 v2, -3, v0
	v_mov_b32_e32 v3, v1
	v_mov_b32_e32 v7, 2
	;; [unrolled: 1-line block ×3, first 2 shown]
	s_mov_b64 s[10:11], 3
	s_getpc_b64 s[6:7]
	s_add_u32 s6, s6, .str.6@rel32@lo+4
	s_addc_u32 s7, s7, .str.6@rel32@hi+12
	s_branch .LBB4_1171
.LBB4_1170:                             ;   in Loop: Header=BB4_1171 Depth=1
	s_or_b32 exec_lo, exec_lo, s5
	s_sub_u32 s10, s10, s16
	s_subb_u32 s11, s11, s17
	s_add_u32 s6, s6, s16
	s_addc_u32 s7, s7, s17
	s_cmp_lg_u64 s[10:11], 0
	s_cbranch_scc0 .LBB4_1246
.LBB4_1171:                             ; =>This Loop Header: Depth=1
                                        ;     Child Loop BB4_1180 Depth 2
                                        ;     Child Loop BB4_1176 Depth 2
	;; [unrolled: 1-line block ×11, first 2 shown]
	v_cmp_lt_u64_e64 s4, s[10:11], 56
	v_cmp_gt_u64_e64 s5, s[10:11], 7
                                        ; implicit-def: $vgpr11_vgpr12
                                        ; implicit-def: $sgpr22
	s_and_b32 s4, s4, exec_lo
	s_cselect_b32 s17, s11, 0
	s_cselect_b32 s16, s10, 56
	s_and_b32 vcc_lo, exec_lo, s5
	s_mov_b32 s4, -1
	s_cbranch_vccz .LBB4_1178
; %bb.1172:                             ;   in Loop: Header=BB4_1171 Depth=1
	s_andn2_b32 vcc_lo, exec_lo, s4
	s_mov_b64 s[4:5], s[6:7]
	s_cbranch_vccz .LBB4_1182
.LBB4_1173:                             ;   in Loop: Header=BB4_1171 Depth=1
	s_cmp_gt_u32 s22, 7
	s_cbranch_scc1 .LBB4_1183
.LBB4_1174:                             ;   in Loop: Header=BB4_1171 Depth=1
	v_mov_b32_e32 v13, 0
	v_mov_b32_e32 v14, 0
	s_cmp_eq_u32 s22, 0
	s_cbranch_scc1 .LBB4_1177
; %bb.1175:                             ;   in Loop: Header=BB4_1171 Depth=1
	s_mov_b64 s[18:19], 0
	s_mov_b64 s[20:21], 0
.LBB4_1176:                             ;   Parent Loop BB4_1171 Depth=1
                                        ; =>  This Inner Loop Header: Depth=2
	s_add_u32 s24, s4, s20
	s_addc_u32 s25, s5, s21
	s_add_u32 s20, s20, 1
	global_load_ubyte v4, v6, s[24:25]
	s_addc_u32 s21, s21, 0
	s_waitcnt vmcnt(0)
	v_and_b32_e32 v5, 0xffff, v4
	v_lshlrev_b64 v[4:5], s18, v[5:6]
	s_add_u32 s18, s18, 8
	s_addc_u32 s19, s19, 0
	s_cmp_lg_u32 s22, s20
	v_or_b32_e32 v13, v4, v13
	v_or_b32_e32 v14, v5, v14
	s_cbranch_scc1 .LBB4_1176
.LBB4_1177:                             ;   in Loop: Header=BB4_1171 Depth=1
	s_mov_b32 s23, 0
	s_cbranch_execz .LBB4_1184
	s_branch .LBB4_1185
.LBB4_1178:                             ;   in Loop: Header=BB4_1171 Depth=1
	v_mov_b32_e32 v11, 0
	v_mov_b32_e32 v12, 0
	s_cmp_eq_u64 s[10:11], 0
	s_mov_b64 s[4:5], 0
	s_cbranch_scc1 .LBB4_1181
; %bb.1179:                             ;   in Loop: Header=BB4_1171 Depth=1
	v_mov_b32_e32 v11, 0
	v_mov_b32_e32 v12, 0
	s_lshl_b64 s[18:19], s[16:17], 3
	s_mov_b64 s[20:21], s[6:7]
.LBB4_1180:                             ;   Parent Loop BB4_1171 Depth=1
                                        ; =>  This Inner Loop Header: Depth=2
	global_load_ubyte v4, v6, s[20:21]
	s_waitcnt vmcnt(0)
	v_and_b32_e32 v5, 0xffff, v4
	v_lshlrev_b64 v[4:5], s4, v[5:6]
	s_add_u32 s4, s4, 8
	s_addc_u32 s5, s5, 0
	s_add_u32 s20, s20, 1
	s_addc_u32 s21, s21, 0
	s_cmp_lg_u32 s18, s4
	v_or_b32_e32 v11, v4, v11
	v_or_b32_e32 v12, v5, v12
	s_cbranch_scc1 .LBB4_1180
.LBB4_1181:                             ;   in Loop: Header=BB4_1171 Depth=1
	s_mov_b32 s22, 0
	s_mov_b64 s[4:5], s[6:7]
	s_cbranch_execnz .LBB4_1173
.LBB4_1182:                             ;   in Loop: Header=BB4_1171 Depth=1
	global_load_dwordx2 v[11:12], v6, s[6:7]
	s_add_i32 s22, s16, -8
	s_add_u32 s4, s6, 8
	s_addc_u32 s5, s7, 0
	s_cmp_gt_u32 s22, 7
	s_cbranch_scc0 .LBB4_1174
.LBB4_1183:                             ;   in Loop: Header=BB4_1171 Depth=1
                                        ; implicit-def: $vgpr13_vgpr14
                                        ; implicit-def: $sgpr23
.LBB4_1184:                             ;   in Loop: Header=BB4_1171 Depth=1
	global_load_dwordx2 v[13:14], v6, s[4:5]
	s_add_i32 s23, s22, -8
	s_add_u32 s4, s4, 8
	s_addc_u32 s5, s5, 0
.LBB4_1185:                             ;   in Loop: Header=BB4_1171 Depth=1
	s_cmp_gt_u32 s23, 7
	s_cbranch_scc1 .LBB4_1190
; %bb.1186:                             ;   in Loop: Header=BB4_1171 Depth=1
	v_mov_b32_e32 v15, 0
	v_mov_b32_e32 v16, 0
	s_cmp_eq_u32 s23, 0
	s_cbranch_scc1 .LBB4_1189
; %bb.1187:                             ;   in Loop: Header=BB4_1171 Depth=1
	s_mov_b64 s[18:19], 0
	s_mov_b64 s[20:21], 0
.LBB4_1188:                             ;   Parent Loop BB4_1171 Depth=1
                                        ; =>  This Inner Loop Header: Depth=2
	s_add_u32 s24, s4, s20
	s_addc_u32 s25, s5, s21
	s_add_u32 s20, s20, 1
	global_load_ubyte v4, v6, s[24:25]
	s_addc_u32 s21, s21, 0
	s_waitcnt vmcnt(0)
	v_and_b32_e32 v5, 0xffff, v4
	v_lshlrev_b64 v[4:5], s18, v[5:6]
	s_add_u32 s18, s18, 8
	s_addc_u32 s19, s19, 0
	s_cmp_lg_u32 s23, s20
	v_or_b32_e32 v15, v4, v15
	v_or_b32_e32 v16, v5, v16
	s_cbranch_scc1 .LBB4_1188
.LBB4_1189:                             ;   in Loop: Header=BB4_1171 Depth=1
	s_mov_b32 s22, 0
	s_cbranch_execz .LBB4_1191
	s_branch .LBB4_1192
.LBB4_1190:                             ;   in Loop: Header=BB4_1171 Depth=1
                                        ; implicit-def: $sgpr22
.LBB4_1191:                             ;   in Loop: Header=BB4_1171 Depth=1
	global_load_dwordx2 v[15:16], v6, s[4:5]
	s_add_i32 s22, s23, -8
	s_add_u32 s4, s4, 8
	s_addc_u32 s5, s5, 0
.LBB4_1192:                             ;   in Loop: Header=BB4_1171 Depth=1
	s_cmp_gt_u32 s22, 7
	s_cbranch_scc1 .LBB4_1197
; %bb.1193:                             ;   in Loop: Header=BB4_1171 Depth=1
	v_mov_b32_e32 v17, 0
	v_mov_b32_e32 v18, 0
	s_cmp_eq_u32 s22, 0
	s_cbranch_scc1 .LBB4_1196
; %bb.1194:                             ;   in Loop: Header=BB4_1171 Depth=1
	s_mov_b64 s[18:19], 0
	s_mov_b64 s[20:21], 0
.LBB4_1195:                             ;   Parent Loop BB4_1171 Depth=1
                                        ; =>  This Inner Loop Header: Depth=2
	s_add_u32 s24, s4, s20
	s_addc_u32 s25, s5, s21
	s_add_u32 s20, s20, 1
	global_load_ubyte v4, v6, s[24:25]
	s_addc_u32 s21, s21, 0
	s_waitcnt vmcnt(0)
	v_and_b32_e32 v5, 0xffff, v4
	v_lshlrev_b64 v[4:5], s18, v[5:6]
	s_add_u32 s18, s18, 8
	s_addc_u32 s19, s19, 0
	s_cmp_lg_u32 s22, s20
	v_or_b32_e32 v17, v4, v17
	v_or_b32_e32 v18, v5, v18
	s_cbranch_scc1 .LBB4_1195
.LBB4_1196:                             ;   in Loop: Header=BB4_1171 Depth=1
	s_mov_b32 s23, 0
	s_cbranch_execz .LBB4_1198
	s_branch .LBB4_1199
.LBB4_1197:                             ;   in Loop: Header=BB4_1171 Depth=1
                                        ; implicit-def: $vgpr17_vgpr18
                                        ; implicit-def: $sgpr23
.LBB4_1198:                             ;   in Loop: Header=BB4_1171 Depth=1
	global_load_dwordx2 v[17:18], v6, s[4:5]
	s_add_i32 s23, s22, -8
	s_add_u32 s4, s4, 8
	s_addc_u32 s5, s5, 0
.LBB4_1199:                             ;   in Loop: Header=BB4_1171 Depth=1
	s_cmp_gt_u32 s23, 7
	s_cbranch_scc1 .LBB4_1204
; %bb.1200:                             ;   in Loop: Header=BB4_1171 Depth=1
	v_mov_b32_e32 v19, 0
	v_mov_b32_e32 v20, 0
	s_cmp_eq_u32 s23, 0
	s_cbranch_scc1 .LBB4_1203
; %bb.1201:                             ;   in Loop: Header=BB4_1171 Depth=1
	s_mov_b64 s[18:19], 0
	s_mov_b64 s[20:21], 0
.LBB4_1202:                             ;   Parent Loop BB4_1171 Depth=1
                                        ; =>  This Inner Loop Header: Depth=2
	s_add_u32 s24, s4, s20
	s_addc_u32 s25, s5, s21
	s_add_u32 s20, s20, 1
	global_load_ubyte v4, v6, s[24:25]
	s_addc_u32 s21, s21, 0
	s_waitcnt vmcnt(0)
	v_and_b32_e32 v5, 0xffff, v4
	v_lshlrev_b64 v[4:5], s18, v[5:6]
	s_add_u32 s18, s18, 8
	s_addc_u32 s19, s19, 0
	s_cmp_lg_u32 s23, s20
	v_or_b32_e32 v19, v4, v19
	v_or_b32_e32 v20, v5, v20
	s_cbranch_scc1 .LBB4_1202
.LBB4_1203:                             ;   in Loop: Header=BB4_1171 Depth=1
	s_mov_b32 s22, 0
	s_cbranch_execz .LBB4_1205
	s_branch .LBB4_1206
.LBB4_1204:                             ;   in Loop: Header=BB4_1171 Depth=1
                                        ; implicit-def: $sgpr22
.LBB4_1205:                             ;   in Loop: Header=BB4_1171 Depth=1
	global_load_dwordx2 v[19:20], v6, s[4:5]
	s_add_i32 s22, s23, -8
	s_add_u32 s4, s4, 8
	s_addc_u32 s5, s5, 0
.LBB4_1206:                             ;   in Loop: Header=BB4_1171 Depth=1
	s_cmp_gt_u32 s22, 7
	s_cbranch_scc1 .LBB4_1211
; %bb.1207:                             ;   in Loop: Header=BB4_1171 Depth=1
	v_mov_b32_e32 v21, 0
	v_mov_b32_e32 v22, 0
	s_cmp_eq_u32 s22, 0
	s_cbranch_scc1 .LBB4_1210
; %bb.1208:                             ;   in Loop: Header=BB4_1171 Depth=1
	s_mov_b64 s[18:19], 0
	s_mov_b64 s[20:21], 0
.LBB4_1209:                             ;   Parent Loop BB4_1171 Depth=1
                                        ; =>  This Inner Loop Header: Depth=2
	s_add_u32 s24, s4, s20
	s_addc_u32 s25, s5, s21
	s_add_u32 s20, s20, 1
	global_load_ubyte v4, v6, s[24:25]
	s_addc_u32 s21, s21, 0
	s_waitcnt vmcnt(0)
	v_and_b32_e32 v5, 0xffff, v4
	v_lshlrev_b64 v[4:5], s18, v[5:6]
	s_add_u32 s18, s18, 8
	s_addc_u32 s19, s19, 0
	s_cmp_lg_u32 s22, s20
	v_or_b32_e32 v21, v4, v21
	v_or_b32_e32 v22, v5, v22
	s_cbranch_scc1 .LBB4_1209
.LBB4_1210:                             ;   in Loop: Header=BB4_1171 Depth=1
	s_mov_b32 s23, 0
	s_cbranch_execz .LBB4_1212
	s_branch .LBB4_1213
.LBB4_1211:                             ;   in Loop: Header=BB4_1171 Depth=1
                                        ; implicit-def: $vgpr21_vgpr22
                                        ; implicit-def: $sgpr23
.LBB4_1212:                             ;   in Loop: Header=BB4_1171 Depth=1
	global_load_dwordx2 v[21:22], v6, s[4:5]
	s_add_i32 s23, s22, -8
	s_add_u32 s4, s4, 8
	s_addc_u32 s5, s5, 0
.LBB4_1213:                             ;   in Loop: Header=BB4_1171 Depth=1
	s_cmp_gt_u32 s23, 7
	s_cbranch_scc1 .LBB4_1218
; %bb.1214:                             ;   in Loop: Header=BB4_1171 Depth=1
	v_mov_b32_e32 v23, 0
	v_mov_b32_e32 v24, 0
	s_cmp_eq_u32 s23, 0
	s_cbranch_scc1 .LBB4_1217
; %bb.1215:                             ;   in Loop: Header=BB4_1171 Depth=1
	s_mov_b64 s[18:19], 0
	s_mov_b64 s[20:21], s[4:5]
.LBB4_1216:                             ;   Parent Loop BB4_1171 Depth=1
                                        ; =>  This Inner Loop Header: Depth=2
	global_load_ubyte v4, v6, s[20:21]
	s_add_i32 s23, s23, -1
	s_waitcnt vmcnt(0)
	v_and_b32_e32 v5, 0xffff, v4
	v_lshlrev_b64 v[4:5], s18, v[5:6]
	s_add_u32 s18, s18, 8
	s_addc_u32 s19, s19, 0
	s_add_u32 s20, s20, 1
	s_addc_u32 s21, s21, 0
	s_cmp_lg_u32 s23, 0
	v_or_b32_e32 v23, v4, v23
	v_or_b32_e32 v24, v5, v24
	s_cbranch_scc1 .LBB4_1216
.LBB4_1217:                             ;   in Loop: Header=BB4_1171 Depth=1
	s_cbranch_execz .LBB4_1219
	s_branch .LBB4_1220
.LBB4_1218:                             ;   in Loop: Header=BB4_1171 Depth=1
.LBB4_1219:                             ;   in Loop: Header=BB4_1171 Depth=1
	global_load_dwordx2 v[23:24], v6, s[4:5]
.LBB4_1220:                             ;   in Loop: Header=BB4_1171 Depth=1
	v_readfirstlane_b32 s4, v50
	s_waitcnt vmcnt(0)
	v_mov_b32_e32 v4, 0
	v_mov_b32_e32 v5, 0
	v_cmp_eq_u32_e64 s4, s4, v50
	s_and_saveexec_b32 s5, s4
	s_cbranch_execz .LBB4_1226
; %bb.1221:                             ;   in Loop: Header=BB4_1171 Depth=1
	global_load_dwordx2 v[27:28], v6, s[26:27] offset:24 glc dlc
	s_waitcnt vmcnt(0)
	buffer_gl1_inv
	buffer_gl0_inv
	s_clause 0x1
	global_load_dwordx2 v[4:5], v6, s[26:27] offset:40
	global_load_dwordx2 v[9:10], v6, s[26:27]
	s_mov_b32 s18, exec_lo
	s_waitcnt vmcnt(1)
	v_and_b32_e32 v5, v5, v28
	v_and_b32_e32 v4, v4, v27
	v_mul_lo_u32 v5, v5, 24
	v_mul_hi_u32 v25, v4, 24
	v_mul_lo_u32 v4, v4, 24
	v_add_nc_u32_e32 v5, v25, v5
	s_waitcnt vmcnt(0)
	v_add_co_u32 v4, vcc_lo, v9, v4
	v_add_co_ci_u32_e32 v5, vcc_lo, v10, v5, vcc_lo
	global_load_dwordx2 v[25:26], v[4:5], off glc dlc
	s_waitcnt vmcnt(0)
	global_atomic_cmpswap_x2 v[4:5], v6, v[25:28], s[26:27] offset:24 glc
	s_waitcnt vmcnt(0)
	buffer_gl1_inv
	buffer_gl0_inv
	v_cmpx_ne_u64_e64 v[4:5], v[27:28]
	s_cbranch_execz .LBB4_1225
; %bb.1222:                             ;   in Loop: Header=BB4_1171 Depth=1
	s_mov_b32 s19, 0
	.p2align	6
.LBB4_1223:                             ;   Parent Loop BB4_1171 Depth=1
                                        ; =>  This Inner Loop Header: Depth=2
	s_sleep 1
	s_clause 0x1
	global_load_dwordx2 v[9:10], v6, s[26:27] offset:40
	global_load_dwordx2 v[25:26], v6, s[26:27]
	v_mov_b32_e32 v28, v5
	v_mov_b32_e32 v27, v4
	s_waitcnt vmcnt(1)
	v_and_b32_e32 v4, v9, v27
	v_and_b32_e32 v9, v10, v28
	s_waitcnt vmcnt(0)
	v_mad_u64_u32 v[4:5], null, v4, 24, v[25:26]
	v_mad_u64_u32 v[9:10], null, v9, 24, v[5:6]
	v_mov_b32_e32 v5, v9
	global_load_dwordx2 v[25:26], v[4:5], off glc dlc
	s_waitcnt vmcnt(0)
	global_atomic_cmpswap_x2 v[4:5], v6, v[25:28], s[26:27] offset:24 glc
	s_waitcnt vmcnt(0)
	buffer_gl1_inv
	buffer_gl0_inv
	v_cmp_eq_u64_e32 vcc_lo, v[4:5], v[27:28]
	s_or_b32 s19, vcc_lo, s19
	s_andn2_b32 exec_lo, exec_lo, s19
	s_cbranch_execnz .LBB4_1223
; %bb.1224:                             ;   in Loop: Header=BB4_1171 Depth=1
	s_or_b32 exec_lo, exec_lo, s19
.LBB4_1225:                             ;   in Loop: Header=BB4_1171 Depth=1
	s_or_b32 exec_lo, exec_lo, s18
.LBB4_1226:                             ;   in Loop: Header=BB4_1171 Depth=1
	s_or_b32 exec_lo, exec_lo, s5
	s_clause 0x1
	global_load_dwordx2 v[9:10], v6, s[26:27] offset:40
	global_load_dwordx4 v[25:28], v6, s[26:27]
	v_readfirstlane_b32 s18, v4
	v_readfirstlane_b32 s19, v5
	s_mov_b32 s5, exec_lo
	s_waitcnt vmcnt(1)
	v_readfirstlane_b32 s20, v9
	v_readfirstlane_b32 s21, v10
	s_and_b64 s[20:21], s[18:19], s[20:21]
	s_mul_i32 s22, s21, 24
	s_mul_hi_u32 s23, s20, 24
	s_mul_i32 s24, s20, 24
	s_add_i32 s23, s23, s22
	s_waitcnt vmcnt(0)
	v_add_co_u32 v29, vcc_lo, v25, s24
	v_add_co_ci_u32_e32 v30, vcc_lo, s23, v26, vcc_lo
	s_and_saveexec_b32 s22, s4
	s_cbranch_execz .LBB4_1228
; %bb.1227:                             ;   in Loop: Header=BB4_1171 Depth=1
	v_mov_b32_e32 v5, s5
	global_store_dwordx4 v[29:30], v[5:8], off offset:8
.LBB4_1228:                             ;   in Loop: Header=BB4_1171 Depth=1
	s_or_b32 exec_lo, exec_lo, s22
	s_lshl_b64 s[20:21], s[20:21], 12
	v_cmp_gt_u64_e64 vcc_lo, s[10:11], 56
	v_or_b32_e32 v5, v2, v31
	v_add_co_u32 v27, s5, v27, s20
	v_add_co_ci_u32_e64 v28, s5, s21, v28, s5
	s_lshl_b32 s5, s16, 2
	v_or_b32_e32 v4, 0, v3
	v_cndmask_b32_e32 v2, v5, v2, vcc_lo
	s_add_i32 s5, s5, 28
	v_readfirstlane_b32 s20, v27
	s_and_b32 s5, s5, 0x1e0
	v_cndmask_b32_e32 v10, v4, v3, vcc_lo
	v_readfirstlane_b32 s21, v28
	v_and_or_b32 v9, 0xffffff1f, v2, s5
	global_store_dwordx4 v39, v[9:12], s[20:21]
	global_store_dwordx4 v39, v[13:16], s[20:21] offset:16
	global_store_dwordx4 v39, v[17:20], s[20:21] offset:32
	;; [unrolled: 1-line block ×3, first 2 shown]
	s_and_saveexec_b32 s5, s4
	s_cbranch_execz .LBB4_1236
; %bb.1229:                             ;   in Loop: Header=BB4_1171 Depth=1
	s_clause 0x1
	global_load_dwordx2 v[13:14], v6, s[26:27] offset:32 glc dlc
	global_load_dwordx2 v[2:3], v6, s[26:27] offset:40
	v_mov_b32_e32 v11, s18
	v_mov_b32_e32 v12, s19
	s_waitcnt vmcnt(0)
	v_readfirstlane_b32 s20, v2
	v_readfirstlane_b32 s21, v3
	s_and_b64 s[20:21], s[20:21], s[18:19]
	s_mul_i32 s21, s21, 24
	s_mul_hi_u32 s22, s20, 24
	s_mul_i32 s20, s20, 24
	s_add_i32 s22, s22, s21
	v_add_co_u32 v9, vcc_lo, v25, s20
	v_add_co_ci_u32_e32 v10, vcc_lo, s22, v26, vcc_lo
	s_mov_b32 s20, exec_lo
	global_store_dwordx2 v[9:10], v[13:14], off
	s_waitcnt_vscnt null, 0x0
	global_atomic_cmpswap_x2 v[4:5], v6, v[11:14], s[26:27] offset:32 glc
	s_waitcnt vmcnt(0)
	v_cmpx_ne_u64_e64 v[4:5], v[13:14]
	s_cbranch_execz .LBB4_1232
; %bb.1230:                             ;   in Loop: Header=BB4_1171 Depth=1
	s_mov_b32 s21, 0
.LBB4_1231:                             ;   Parent Loop BB4_1171 Depth=1
                                        ; =>  This Inner Loop Header: Depth=2
	v_mov_b32_e32 v2, s18
	v_mov_b32_e32 v3, s19
	s_sleep 1
	global_store_dwordx2 v[9:10], v[4:5], off
	s_waitcnt_vscnt null, 0x0
	global_atomic_cmpswap_x2 v[2:3], v6, v[2:5], s[26:27] offset:32 glc
	s_waitcnt vmcnt(0)
	v_cmp_eq_u64_e32 vcc_lo, v[2:3], v[4:5]
	v_mov_b32_e32 v5, v3
	v_mov_b32_e32 v4, v2
	s_or_b32 s21, vcc_lo, s21
	s_andn2_b32 exec_lo, exec_lo, s21
	s_cbranch_execnz .LBB4_1231
.LBB4_1232:                             ;   in Loop: Header=BB4_1171 Depth=1
	s_or_b32 exec_lo, exec_lo, s20
	global_load_dwordx2 v[2:3], v6, s[26:27] offset:16
	s_mov_b32 s21, exec_lo
	s_mov_b32 s20, exec_lo
	v_mbcnt_lo_u32_b32 v4, s21, 0
	v_cmpx_eq_u32_e32 0, v4
	s_cbranch_execz .LBB4_1234
; %bb.1233:                             ;   in Loop: Header=BB4_1171 Depth=1
	s_bcnt1_i32_b32 s21, s21
	v_mov_b32_e32 v5, s21
	s_waitcnt vmcnt(0)
	global_atomic_add_x2 v[2:3], v[5:6], off offset:8
.LBB4_1234:                             ;   in Loop: Header=BB4_1171 Depth=1
	s_or_b32 exec_lo, exec_lo, s20
	s_waitcnt vmcnt(0)
	global_load_dwordx2 v[9:10], v[2:3], off offset:16
	s_waitcnt vmcnt(0)
	v_cmp_eq_u64_e32 vcc_lo, 0, v[9:10]
	s_cbranch_vccnz .LBB4_1236
; %bb.1235:                             ;   in Loop: Header=BB4_1171 Depth=1
	global_load_dword v5, v[2:3], off offset:24
	s_waitcnt vmcnt(0)
	v_and_b32_e32 v2, 0x7fffff, v5
	s_waitcnt_vscnt null, 0x0
	global_store_dwordx2 v[9:10], v[5:6], off
	v_readfirstlane_b32 m0, v2
	s_sendmsg sendmsg(MSG_INTERRUPT)
.LBB4_1236:                             ;   in Loop: Header=BB4_1171 Depth=1
	s_or_b32 exec_lo, exec_lo, s5
	v_add_co_u32 v2, vcc_lo, v27, v39
	v_add_co_ci_u32_e32 v3, vcc_lo, 0, v28, vcc_lo
	s_branch .LBB4_1240
	.p2align	6
.LBB4_1237:                             ;   in Loop: Header=BB4_1240 Depth=2
	s_or_b32 exec_lo, exec_lo, s5
	v_readfirstlane_b32 s5, v4
	s_cmp_eq_u32 s5, 0
	s_cbranch_scc1 .LBB4_1239
; %bb.1238:                             ;   in Loop: Header=BB4_1240 Depth=2
	s_sleep 1
	s_cbranch_execnz .LBB4_1240
	s_branch .LBB4_1242
	.p2align	6
.LBB4_1239:                             ;   in Loop: Header=BB4_1171 Depth=1
	s_branch .LBB4_1242
.LBB4_1240:                             ;   Parent Loop BB4_1171 Depth=1
                                        ; =>  This Inner Loop Header: Depth=2
	v_mov_b32_e32 v4, 1
	s_and_saveexec_b32 s5, s4
	s_cbranch_execz .LBB4_1237
; %bb.1241:                             ;   in Loop: Header=BB4_1240 Depth=2
	global_load_dword v4, v[29:30], off offset:20 glc dlc
	s_waitcnt vmcnt(0)
	buffer_gl1_inv
	buffer_gl0_inv
	v_and_b32_e32 v4, 1, v4
	s_branch .LBB4_1237
.LBB4_1242:                             ;   in Loop: Header=BB4_1171 Depth=1
	global_load_dwordx4 v[2:5], v[2:3], off
	s_and_saveexec_b32 s5, s4
	s_cbranch_execz .LBB4_1170
; %bb.1243:                             ;   in Loop: Header=BB4_1171 Depth=1
	s_clause 0x2
	global_load_dwordx2 v[4:5], v6, s[26:27] offset:40
	global_load_dwordx2 v[13:14], v6, s[26:27] offset:24 glc dlc
	global_load_dwordx2 v[11:12], v6, s[26:27]
	s_waitcnt vmcnt(2)
	v_add_co_u32 v15, vcc_lo, v4, 1
	v_add_co_ci_u32_e32 v16, vcc_lo, 0, v5, vcc_lo
	v_add_co_u32 v9, vcc_lo, v15, s18
	v_add_co_ci_u32_e32 v10, vcc_lo, s19, v16, vcc_lo
	v_cmp_eq_u64_e32 vcc_lo, 0, v[9:10]
	v_cndmask_b32_e32 v10, v10, v16, vcc_lo
	v_cndmask_b32_e32 v9, v9, v15, vcc_lo
	v_and_b32_e32 v5, v10, v5
	v_and_b32_e32 v4, v9, v4
	v_mul_lo_u32 v5, v5, 24
	v_mul_hi_u32 v15, v4, 24
	v_mul_lo_u32 v4, v4, 24
	v_add_nc_u32_e32 v5, v15, v5
	s_waitcnt vmcnt(0)
	v_add_co_u32 v4, vcc_lo, v11, v4
	v_mov_b32_e32 v11, v13
	v_add_co_ci_u32_e32 v5, vcc_lo, v12, v5, vcc_lo
	v_mov_b32_e32 v12, v14
	global_store_dwordx2 v[4:5], v[13:14], off
	s_waitcnt_vscnt null, 0x0
	global_atomic_cmpswap_x2 v[11:12], v6, v[9:12], s[26:27] offset:24 glc
	s_waitcnt vmcnt(0)
	v_cmp_ne_u64_e32 vcc_lo, v[11:12], v[13:14]
	s_and_b32 exec_lo, exec_lo, vcc_lo
	s_cbranch_execz .LBB4_1170
; %bb.1244:                             ;   in Loop: Header=BB4_1171 Depth=1
	s_mov_b32 s4, 0
.LBB4_1245:                             ;   Parent Loop BB4_1171 Depth=1
                                        ; =>  This Inner Loop Header: Depth=2
	s_sleep 1
	global_store_dwordx2 v[4:5], v[11:12], off
	s_waitcnt_vscnt null, 0x0
	global_atomic_cmpswap_x2 v[13:14], v6, v[9:12], s[26:27] offset:24 glc
	s_waitcnt vmcnt(0)
	v_cmp_eq_u64_e32 vcc_lo, v[13:14], v[11:12]
	v_mov_b32_e32 v11, v13
	v_mov_b32_e32 v12, v14
	s_or_b32 s4, vcc_lo, s4
	s_andn2_b32 exec_lo, exec_lo, s4
	s_cbranch_execnz .LBB4_1245
	s_branch .LBB4_1170
.LBB4_1246:
	s_branch .LBB4_1275
.LBB4_1247:
                                        ; implicit-def: $vgpr2_vgpr3
	s_cbranch_execz .LBB4_1275
; %bb.1248:
	v_readfirstlane_b32 s4, v50
	v_mov_b32_e32 v8, 0
	v_mov_b32_e32 v9, 0
	v_cmp_eq_u32_e64 s4, s4, v50
	s_and_saveexec_b32 s5, s4
	s_cbranch_execz .LBB4_1254
; %bb.1249:
	s_waitcnt vmcnt(0)
	v_mov_b32_e32 v2, 0
	s_mov_b32 s6, exec_lo
	global_load_dwordx2 v[5:6], v2, s[26:27] offset:24 glc dlc
	s_waitcnt vmcnt(0)
	buffer_gl1_inv
	buffer_gl0_inv
	s_clause 0x1
	global_load_dwordx2 v[3:4], v2, s[26:27] offset:40
	global_load_dwordx2 v[7:8], v2, s[26:27]
	s_waitcnt vmcnt(1)
	v_and_b32_e32 v4, v4, v6
	v_and_b32_e32 v3, v3, v5
	v_mul_lo_u32 v4, v4, 24
	v_mul_hi_u32 v9, v3, 24
	v_mul_lo_u32 v3, v3, 24
	v_add_nc_u32_e32 v4, v9, v4
	s_waitcnt vmcnt(0)
	v_add_co_u32 v3, vcc_lo, v7, v3
	v_add_co_ci_u32_e32 v4, vcc_lo, v8, v4, vcc_lo
	global_load_dwordx2 v[3:4], v[3:4], off glc dlc
	s_waitcnt vmcnt(0)
	global_atomic_cmpswap_x2 v[8:9], v2, v[3:6], s[26:27] offset:24 glc
	s_waitcnt vmcnt(0)
	buffer_gl1_inv
	buffer_gl0_inv
	v_cmpx_ne_u64_e64 v[8:9], v[5:6]
	s_cbranch_execz .LBB4_1253
; %bb.1250:
	s_mov_b32 s7, 0
	.p2align	6
.LBB4_1251:                             ; =>This Inner Loop Header: Depth=1
	s_sleep 1
	s_clause 0x1
	global_load_dwordx2 v[3:4], v2, s[26:27] offset:40
	global_load_dwordx2 v[10:11], v2, s[26:27]
	v_mov_b32_e32 v5, v8
	v_mov_b32_e32 v6, v9
	s_waitcnt vmcnt(1)
	v_and_b32_e32 v3, v3, v5
	v_and_b32_e32 v4, v4, v6
	s_waitcnt vmcnt(0)
	v_mad_u64_u32 v[7:8], null, v3, 24, v[10:11]
	v_mov_b32_e32 v3, v8
	v_mad_u64_u32 v[3:4], null, v4, 24, v[3:4]
	v_mov_b32_e32 v8, v3
	global_load_dwordx2 v[3:4], v[7:8], off glc dlc
	s_waitcnt vmcnt(0)
	global_atomic_cmpswap_x2 v[8:9], v2, v[3:6], s[26:27] offset:24 glc
	s_waitcnt vmcnt(0)
	buffer_gl1_inv
	buffer_gl0_inv
	v_cmp_eq_u64_e32 vcc_lo, v[8:9], v[5:6]
	s_or_b32 s7, vcc_lo, s7
	s_andn2_b32 exec_lo, exec_lo, s7
	s_cbranch_execnz .LBB4_1251
; %bb.1252:
	s_or_b32 exec_lo, exec_lo, s7
.LBB4_1253:
	s_or_b32 exec_lo, exec_lo, s6
.LBB4_1254:
	s_or_b32 exec_lo, exec_lo, s5
	s_waitcnt vmcnt(0)
	v_mov_b32_e32 v2, 0
	v_readfirstlane_b32 s6, v8
	v_readfirstlane_b32 s7, v9
	s_mov_b32 s5, exec_lo
	s_clause 0x1
	global_load_dwordx2 v[10:11], v2, s[26:27] offset:40
	global_load_dwordx4 v[4:7], v2, s[26:27]
	s_waitcnt vmcnt(1)
	v_readfirstlane_b32 s10, v10
	v_readfirstlane_b32 s11, v11
	s_and_b64 s[10:11], s[6:7], s[10:11]
	s_mul_i32 s16, s11, 24
	s_mul_hi_u32 s17, s10, 24
	s_mul_i32 s18, s10, 24
	s_add_i32 s17, s17, s16
	s_waitcnt vmcnt(0)
	v_add_co_u32 v8, vcc_lo, v4, s18
	v_add_co_ci_u32_e32 v9, vcc_lo, s17, v5, vcc_lo
	s_and_saveexec_b32 s16, s4
	s_cbranch_execz .LBB4_1256
; %bb.1255:
	v_mov_b32_e32 v10, s5
	v_mov_b32_e32 v11, v2
	;; [unrolled: 1-line block ×4, first 2 shown]
	global_store_dwordx4 v[8:9], v[10:13], off offset:8
.LBB4_1256:
	s_or_b32 exec_lo, exec_lo, s16
	s_lshl_b64 s[10:11], s[10:11], 12
	s_mov_b32 s16, 0
	v_add_co_u32 v6, vcc_lo, v6, s10
	v_add_co_ci_u32_e32 v7, vcc_lo, s11, v7, vcc_lo
	s_mov_b32 s17, s16
	v_readfirstlane_b32 s10, v6
	v_add_co_u32 v6, vcc_lo, v6, v39
	s_mov_b32 s18, s16
	s_mov_b32 s19, s16
	v_and_or_b32 v0, 0xffffff1f, v0, 32
	v_mov_b32_e32 v3, v2
	v_readfirstlane_b32 s11, v7
	v_mov_b32_e32 v10, s16
	v_add_co_ci_u32_e32 v7, vcc_lo, 0, v7, vcc_lo
	v_mov_b32_e32 v11, s17
	v_mov_b32_e32 v12, s18
	;; [unrolled: 1-line block ×3, first 2 shown]
	global_store_dwordx4 v39, v[0:3], s[10:11]
	global_store_dwordx4 v39, v[10:13], s[10:11] offset:16
	global_store_dwordx4 v39, v[10:13], s[10:11] offset:32
	;; [unrolled: 1-line block ×3, first 2 shown]
	s_and_saveexec_b32 s5, s4
	s_cbranch_execz .LBB4_1264
; %bb.1257:
	v_mov_b32_e32 v10, 0
	v_mov_b32_e32 v11, s6
	;; [unrolled: 1-line block ×3, first 2 shown]
	s_clause 0x1
	global_load_dwordx2 v[13:14], v10, s[26:27] offset:32 glc dlc
	global_load_dwordx2 v[0:1], v10, s[26:27] offset:40
	s_waitcnt vmcnt(0)
	v_readfirstlane_b32 s10, v0
	v_readfirstlane_b32 s11, v1
	s_and_b64 s[10:11], s[10:11], s[6:7]
	s_mul_i32 s11, s11, 24
	s_mul_hi_u32 s16, s10, 24
	s_mul_i32 s10, s10, 24
	s_add_i32 s16, s16, s11
	v_add_co_u32 v4, vcc_lo, v4, s10
	v_add_co_ci_u32_e32 v5, vcc_lo, s16, v5, vcc_lo
	s_mov_b32 s10, exec_lo
	global_store_dwordx2 v[4:5], v[13:14], off
	s_waitcnt_vscnt null, 0x0
	global_atomic_cmpswap_x2 v[2:3], v10, v[11:14], s[26:27] offset:32 glc
	s_waitcnt vmcnt(0)
	v_cmpx_ne_u64_e64 v[2:3], v[13:14]
	s_cbranch_execz .LBB4_1260
; %bb.1258:
	s_mov_b32 s11, 0
.LBB4_1259:                             ; =>This Inner Loop Header: Depth=1
	v_mov_b32_e32 v0, s6
	v_mov_b32_e32 v1, s7
	s_sleep 1
	global_store_dwordx2 v[4:5], v[2:3], off
	s_waitcnt_vscnt null, 0x0
	global_atomic_cmpswap_x2 v[0:1], v10, v[0:3], s[26:27] offset:32 glc
	s_waitcnt vmcnt(0)
	v_cmp_eq_u64_e32 vcc_lo, v[0:1], v[2:3]
	v_mov_b32_e32 v3, v1
	v_mov_b32_e32 v2, v0
	s_or_b32 s11, vcc_lo, s11
	s_andn2_b32 exec_lo, exec_lo, s11
	s_cbranch_execnz .LBB4_1259
.LBB4_1260:
	s_or_b32 exec_lo, exec_lo, s10
	v_mov_b32_e32 v3, 0
	s_mov_b32 s11, exec_lo
	s_mov_b32 s10, exec_lo
	v_mbcnt_lo_u32_b32 v2, s11, 0
	global_load_dwordx2 v[0:1], v3, s[26:27] offset:16
	v_cmpx_eq_u32_e32 0, v2
	s_cbranch_execz .LBB4_1262
; %bb.1261:
	s_bcnt1_i32_b32 s11, s11
	v_mov_b32_e32 v2, s11
	s_waitcnt vmcnt(0)
	global_atomic_add_x2 v[0:1], v[2:3], off offset:8
.LBB4_1262:
	s_or_b32 exec_lo, exec_lo, s10
	s_waitcnt vmcnt(0)
	global_load_dwordx2 v[2:3], v[0:1], off offset:16
	s_waitcnt vmcnt(0)
	v_cmp_eq_u64_e32 vcc_lo, 0, v[2:3]
	s_cbranch_vccnz .LBB4_1264
; %bb.1263:
	global_load_dword v0, v[0:1], off offset:24
	v_mov_b32_e32 v1, 0
	s_waitcnt vmcnt(0)
	v_and_b32_e32 v4, 0x7fffff, v0
	s_waitcnt_vscnt null, 0x0
	global_store_dwordx2 v[2:3], v[0:1], off
	v_readfirstlane_b32 m0, v4
	s_sendmsg sendmsg(MSG_INTERRUPT)
.LBB4_1264:
	s_or_b32 exec_lo, exec_lo, s5
	s_branch .LBB4_1268
	.p2align	6
.LBB4_1265:                             ;   in Loop: Header=BB4_1268 Depth=1
	s_or_b32 exec_lo, exec_lo, s5
	v_readfirstlane_b32 s5, v0
	s_cmp_eq_u32 s5, 0
	s_cbranch_scc1 .LBB4_1267
; %bb.1266:                             ;   in Loop: Header=BB4_1268 Depth=1
	s_sleep 1
	s_cbranch_execnz .LBB4_1268
	s_branch .LBB4_1270
	.p2align	6
.LBB4_1267:
	s_branch .LBB4_1270
.LBB4_1268:                             ; =>This Inner Loop Header: Depth=1
	v_mov_b32_e32 v0, 1
	s_and_saveexec_b32 s5, s4
	s_cbranch_execz .LBB4_1265
; %bb.1269:                             ;   in Loop: Header=BB4_1268 Depth=1
	global_load_dword v0, v[8:9], off offset:20 glc dlc
	s_waitcnt vmcnt(0)
	buffer_gl1_inv
	buffer_gl0_inv
	v_and_b32_e32 v0, 1, v0
	s_branch .LBB4_1265
.LBB4_1270:
	global_load_dwordx2 v[2:3], v[6:7], off
	s_and_saveexec_b32 s5, s4
	s_cbranch_execz .LBB4_1274
; %bb.1271:
	v_mov_b32_e32 v8, 0
	s_clause 0x2
	global_load_dwordx2 v[0:1], v8, s[26:27] offset:40
	global_load_dwordx2 v[9:10], v8, s[26:27] offset:24 glc dlc
	global_load_dwordx2 v[6:7], v8, s[26:27]
	s_waitcnt vmcnt(2)
	v_add_co_u32 v11, vcc_lo, v0, 1
	v_add_co_ci_u32_e32 v12, vcc_lo, 0, v1, vcc_lo
	v_add_co_u32 v4, vcc_lo, v11, s6
	v_add_co_ci_u32_e32 v5, vcc_lo, s7, v12, vcc_lo
	v_cmp_eq_u64_e32 vcc_lo, 0, v[4:5]
	v_cndmask_b32_e32 v5, v5, v12, vcc_lo
	v_cndmask_b32_e32 v4, v4, v11, vcc_lo
	v_and_b32_e32 v1, v5, v1
	v_and_b32_e32 v0, v4, v0
	v_mul_lo_u32 v1, v1, 24
	v_mul_hi_u32 v11, v0, 24
	v_mul_lo_u32 v0, v0, 24
	v_add_nc_u32_e32 v1, v11, v1
	s_waitcnt vmcnt(0)
	v_add_co_u32 v0, vcc_lo, v6, v0
	v_mov_b32_e32 v6, v9
	v_add_co_ci_u32_e32 v1, vcc_lo, v7, v1, vcc_lo
	v_mov_b32_e32 v7, v10
	global_store_dwordx2 v[0:1], v[9:10], off
	s_waitcnt_vscnt null, 0x0
	global_atomic_cmpswap_x2 v[6:7], v8, v[4:7], s[26:27] offset:24 glc
	s_waitcnt vmcnt(0)
	v_cmp_ne_u64_e32 vcc_lo, v[6:7], v[9:10]
	s_and_b32 exec_lo, exec_lo, vcc_lo
	s_cbranch_execz .LBB4_1274
; %bb.1272:
	s_mov_b32 s4, 0
.LBB4_1273:                             ; =>This Inner Loop Header: Depth=1
	s_sleep 1
	global_store_dwordx2 v[0:1], v[6:7], off
	s_waitcnt_vscnt null, 0x0
	global_atomic_cmpswap_x2 v[9:10], v8, v[4:7], s[26:27] offset:24 glc
	s_waitcnt vmcnt(0)
	v_cmp_eq_u64_e32 vcc_lo, v[9:10], v[6:7]
	v_mov_b32_e32 v6, v9
	v_mov_b32_e32 v7, v10
	s_or_b32 s4, vcc_lo, s4
	s_andn2_b32 exec_lo, exec_lo, s4
	s_cbranch_execnz .LBB4_1273
.LBB4_1274:
	s_or_b32 exec_lo, exec_lo, s5
.LBB4_1275:
	v_readfirstlane_b32 s4, v50
	s_waitcnt vmcnt(0)
	v_mov_b32_e32 v0, 0
	v_mov_b32_e32 v1, 0
	v_cmp_eq_u32_e64 s4, s4, v50
	s_and_saveexec_b32 s5, s4
	s_cbranch_execz .LBB4_1281
; %bb.1276:
	v_mov_b32_e32 v4, 0
	s_mov_b32 s6, exec_lo
	global_load_dwordx2 v[7:8], v4, s[26:27] offset:24 glc dlc
	s_waitcnt vmcnt(0)
	buffer_gl1_inv
	buffer_gl0_inv
	s_clause 0x1
	global_load_dwordx2 v[0:1], v4, s[26:27] offset:40
	global_load_dwordx2 v[5:6], v4, s[26:27]
	s_waitcnt vmcnt(1)
	v_and_b32_e32 v1, v1, v8
	v_and_b32_e32 v0, v0, v7
	v_mul_lo_u32 v1, v1, 24
	v_mul_hi_u32 v9, v0, 24
	v_mul_lo_u32 v0, v0, 24
	v_add_nc_u32_e32 v1, v9, v1
	s_waitcnt vmcnt(0)
	v_add_co_u32 v0, vcc_lo, v5, v0
	v_add_co_ci_u32_e32 v1, vcc_lo, v6, v1, vcc_lo
	global_load_dwordx2 v[5:6], v[0:1], off glc dlc
	s_waitcnt vmcnt(0)
	global_atomic_cmpswap_x2 v[0:1], v4, v[5:8], s[26:27] offset:24 glc
	s_waitcnt vmcnt(0)
	buffer_gl1_inv
	buffer_gl0_inv
	v_cmpx_ne_u64_e64 v[0:1], v[7:8]
	s_cbranch_execz .LBB4_1280
; %bb.1277:
	s_mov_b32 s7, 0
	.p2align	6
.LBB4_1278:                             ; =>This Inner Loop Header: Depth=1
	s_sleep 1
	s_clause 0x1
	global_load_dwordx2 v[5:6], v4, s[26:27] offset:40
	global_load_dwordx2 v[9:10], v4, s[26:27]
	v_mov_b32_e32 v8, v1
	v_mov_b32_e32 v7, v0
	s_waitcnt vmcnt(1)
	v_and_b32_e32 v0, v5, v7
	v_and_b32_e32 v5, v6, v8
	s_waitcnt vmcnt(0)
	v_mad_u64_u32 v[0:1], null, v0, 24, v[9:10]
	v_mad_u64_u32 v[5:6], null, v5, 24, v[1:2]
	v_mov_b32_e32 v1, v5
	global_load_dwordx2 v[5:6], v[0:1], off glc dlc
	s_waitcnt vmcnt(0)
	global_atomic_cmpswap_x2 v[0:1], v4, v[5:8], s[26:27] offset:24 glc
	s_waitcnt vmcnt(0)
	buffer_gl1_inv
	buffer_gl0_inv
	v_cmp_eq_u64_e32 vcc_lo, v[0:1], v[7:8]
	s_or_b32 s7, vcc_lo, s7
	s_andn2_b32 exec_lo, exec_lo, s7
	s_cbranch_execnz .LBB4_1278
; %bb.1279:
	s_or_b32 exec_lo, exec_lo, s7
.LBB4_1280:
	s_or_b32 exec_lo, exec_lo, s6
.LBB4_1281:
	s_or_b32 exec_lo, exec_lo, s5
	v_mov_b32_e32 v5, 0
	v_readfirstlane_b32 s6, v0
	v_readfirstlane_b32 s7, v1
	s_mov_b32 s5, exec_lo
	s_clause 0x1
	global_load_dwordx2 v[10:11], v5, s[26:27] offset:40
	global_load_dwordx4 v[6:9], v5, s[26:27]
	s_waitcnt vmcnt(1)
	v_readfirstlane_b32 s10, v10
	v_readfirstlane_b32 s11, v11
	s_and_b64 s[10:11], s[6:7], s[10:11]
	s_mul_i32 s16, s11, 24
	s_mul_hi_u32 s17, s10, 24
	s_mul_i32 s18, s10, 24
	s_add_i32 s17, s17, s16
	s_waitcnt vmcnt(0)
	v_add_co_u32 v10, vcc_lo, v6, s18
	v_add_co_ci_u32_e32 v11, vcc_lo, s17, v7, vcc_lo
	s_and_saveexec_b32 s16, s4
	s_cbranch_execz .LBB4_1283
; %bb.1282:
	v_mov_b32_e32 v4, s5
	v_mov_b32_e32 v13, v5
	;; [unrolled: 1-line block ×5, first 2 shown]
	global_store_dwordx4 v[10:11], v[12:15], off offset:8
.LBB4_1283:
	s_or_b32 exec_lo, exec_lo, s16
	s_lshl_b64 s[10:11], s[10:11], 12
	s_mov_b32 s16, 0
	v_add_co_u32 v0, vcc_lo, v8, s10
	v_add_co_ci_u32_e32 v1, vcc_lo, s11, v9, vcc_lo
	s_mov_b32 s17, s16
	s_mov_b32 s18, s16
	;; [unrolled: 1-line block ×3, first 2 shown]
	v_and_or_b32 v2, 0xffffff1d, v2, 34
	v_mov_b32_e32 v4, 10
	v_readfirstlane_b32 s10, v0
	v_readfirstlane_b32 s11, v1
	v_mov_b32_e32 v12, s16
	v_mov_b32_e32 v13, s17
	;; [unrolled: 1-line block ×4, first 2 shown]
	global_store_dwordx4 v39, v[2:5], s[10:11]
	global_store_dwordx4 v39, v[12:15], s[10:11] offset:16
	global_store_dwordx4 v39, v[12:15], s[10:11] offset:32
	;; [unrolled: 1-line block ×3, first 2 shown]
	s_and_saveexec_b32 s5, s4
	s_cbranch_execz .LBB4_1291
; %bb.1284:
	v_mov_b32_e32 v8, 0
	v_mov_b32_e32 v12, s6
	;; [unrolled: 1-line block ×3, first 2 shown]
	s_clause 0x1
	global_load_dwordx2 v[14:15], v8, s[26:27] offset:32 glc dlc
	global_load_dwordx2 v[0:1], v8, s[26:27] offset:40
	s_waitcnt vmcnt(0)
	v_readfirstlane_b32 s10, v0
	v_readfirstlane_b32 s11, v1
	s_and_b64 s[10:11], s[10:11], s[6:7]
	s_mul_i32 s11, s11, 24
	s_mul_hi_u32 s16, s10, 24
	s_mul_i32 s10, s10, 24
	s_add_i32 s16, s16, s11
	v_add_co_u32 v4, vcc_lo, v6, s10
	v_add_co_ci_u32_e32 v5, vcc_lo, s16, v7, vcc_lo
	s_mov_b32 s10, exec_lo
	global_store_dwordx2 v[4:5], v[14:15], off
	s_waitcnt_vscnt null, 0x0
	global_atomic_cmpswap_x2 v[2:3], v8, v[12:15], s[26:27] offset:32 glc
	s_waitcnt vmcnt(0)
	v_cmpx_ne_u64_e64 v[2:3], v[14:15]
	s_cbranch_execz .LBB4_1287
; %bb.1285:
	s_mov_b32 s11, 0
.LBB4_1286:                             ; =>This Inner Loop Header: Depth=1
	v_mov_b32_e32 v0, s6
	v_mov_b32_e32 v1, s7
	s_sleep 1
	global_store_dwordx2 v[4:5], v[2:3], off
	s_waitcnt_vscnt null, 0x0
	global_atomic_cmpswap_x2 v[0:1], v8, v[0:3], s[26:27] offset:32 glc
	s_waitcnt vmcnt(0)
	v_cmp_eq_u64_e32 vcc_lo, v[0:1], v[2:3]
	v_mov_b32_e32 v3, v1
	v_mov_b32_e32 v2, v0
	s_or_b32 s11, vcc_lo, s11
	s_andn2_b32 exec_lo, exec_lo, s11
	s_cbranch_execnz .LBB4_1286
.LBB4_1287:
	s_or_b32 exec_lo, exec_lo, s10
	v_mov_b32_e32 v3, 0
	s_mov_b32 s11, exec_lo
	s_mov_b32 s10, exec_lo
	v_mbcnt_lo_u32_b32 v2, s11, 0
	global_load_dwordx2 v[0:1], v3, s[26:27] offset:16
	v_cmpx_eq_u32_e32 0, v2
	s_cbranch_execz .LBB4_1289
; %bb.1288:
	s_bcnt1_i32_b32 s11, s11
	v_mov_b32_e32 v2, s11
	s_waitcnt vmcnt(0)
	global_atomic_add_x2 v[0:1], v[2:3], off offset:8
.LBB4_1289:
	s_or_b32 exec_lo, exec_lo, s10
	s_waitcnt vmcnt(0)
	global_load_dwordx2 v[2:3], v[0:1], off offset:16
	s_waitcnt vmcnt(0)
	v_cmp_eq_u64_e32 vcc_lo, 0, v[2:3]
	s_cbranch_vccnz .LBB4_1291
; %bb.1290:
	global_load_dword v0, v[0:1], off offset:24
	v_mov_b32_e32 v1, 0
	s_waitcnt vmcnt(0)
	v_and_b32_e32 v4, 0x7fffff, v0
	s_waitcnt_vscnt null, 0x0
	global_store_dwordx2 v[2:3], v[0:1], off
	v_readfirstlane_b32 m0, v4
	s_sendmsg sendmsg(MSG_INTERRUPT)
.LBB4_1291:
	s_or_b32 exec_lo, exec_lo, s5
	s_branch .LBB4_1295
	.p2align	6
.LBB4_1292:                             ;   in Loop: Header=BB4_1295 Depth=1
	s_or_b32 exec_lo, exec_lo, s5
	v_readfirstlane_b32 s5, v0
	s_cmp_eq_u32 s5, 0
	s_cbranch_scc1 .LBB4_1294
; %bb.1293:                             ;   in Loop: Header=BB4_1295 Depth=1
	s_sleep 1
	s_cbranch_execnz .LBB4_1295
	s_branch .LBB4_1297
	.p2align	6
.LBB4_1294:
	s_branch .LBB4_1297
.LBB4_1295:                             ; =>This Inner Loop Header: Depth=1
	v_mov_b32_e32 v0, 1
	s_and_saveexec_b32 s5, s4
	s_cbranch_execz .LBB4_1292
; %bb.1296:                             ;   in Loop: Header=BB4_1295 Depth=1
	global_load_dword v0, v[10:11], off offset:20 glc dlc
	s_waitcnt vmcnt(0)
	buffer_gl1_inv
	buffer_gl0_inv
	v_and_b32_e32 v0, 1, v0
	s_branch .LBB4_1292
.LBB4_1297:
	s_and_saveexec_b32 s5, s4
	s_cbranch_execz .LBB4_1301
; %bb.1298:
	v_mov_b32_e32 v6, 0
	s_clause 0x2
	global_load_dwordx2 v[2:3], v6, s[26:27] offset:40
	global_load_dwordx2 v[7:8], v6, s[26:27] offset:24 glc dlc
	global_load_dwordx2 v[4:5], v6, s[26:27]
	s_waitcnt vmcnt(2)
	v_add_co_u32 v9, vcc_lo, v2, 1
	v_add_co_ci_u32_e32 v10, vcc_lo, 0, v3, vcc_lo
	v_add_co_u32 v0, vcc_lo, v9, s6
	v_add_co_ci_u32_e32 v1, vcc_lo, s7, v10, vcc_lo
	v_cmp_eq_u64_e32 vcc_lo, 0, v[0:1]
	v_cndmask_b32_e32 v1, v1, v10, vcc_lo
	v_cndmask_b32_e32 v0, v0, v9, vcc_lo
	v_and_b32_e32 v3, v1, v3
	v_and_b32_e32 v2, v0, v2
	v_mul_lo_u32 v3, v3, 24
	v_mul_hi_u32 v9, v2, 24
	v_mul_lo_u32 v2, v2, 24
	v_add_nc_u32_e32 v3, v9, v3
	s_waitcnt vmcnt(0)
	v_add_co_u32 v4, vcc_lo, v4, v2
	v_mov_b32_e32 v2, v7
	v_add_co_ci_u32_e32 v5, vcc_lo, v5, v3, vcc_lo
	v_mov_b32_e32 v3, v8
	global_store_dwordx2 v[4:5], v[7:8], off
	s_waitcnt_vscnt null, 0x0
	global_atomic_cmpswap_x2 v[2:3], v6, v[0:3], s[26:27] offset:24 glc
	s_waitcnt vmcnt(0)
	v_cmp_ne_u64_e32 vcc_lo, v[2:3], v[7:8]
	s_and_b32 exec_lo, exec_lo, vcc_lo
	s_cbranch_execz .LBB4_1301
; %bb.1299:
	s_mov_b32 s4, 0
.LBB4_1300:                             ; =>This Inner Loop Header: Depth=1
	s_sleep 1
	global_store_dwordx2 v[4:5], v[2:3], off
	s_waitcnt_vscnt null, 0x0
	global_atomic_cmpswap_x2 v[7:8], v6, v[0:3], s[26:27] offset:24 glc
	s_waitcnt vmcnt(0)
	v_cmp_eq_u64_e32 vcc_lo, v[7:8], v[2:3]
	v_mov_b32_e32 v2, v7
	v_mov_b32_e32 v3, v8
	s_or_b32 s4, vcc_lo, s4
	s_andn2_b32 exec_lo, exec_lo, s4
	s_cbranch_execnz .LBB4_1300
.LBB4_1301:
	s_or_b32 exec_lo, exec_lo, s5
	v_readfirstlane_b32 s4, v50
	v_mov_b32_e32 v6, 0
	v_mov_b32_e32 v7, 0
	v_cmp_eq_u32_e64 s4, s4, v50
	s_and_saveexec_b32 s5, s4
	s_cbranch_execz .LBB4_1307
; %bb.1302:
	v_mov_b32_e32 v0, 0
	s_mov_b32 s6, exec_lo
	global_load_dwordx2 v[3:4], v0, s[26:27] offset:24 glc dlc
	s_waitcnt vmcnt(0)
	buffer_gl1_inv
	buffer_gl0_inv
	s_clause 0x1
	global_load_dwordx2 v[1:2], v0, s[26:27] offset:40
	global_load_dwordx2 v[5:6], v0, s[26:27]
	s_waitcnt vmcnt(1)
	v_and_b32_e32 v2, v2, v4
	v_and_b32_e32 v1, v1, v3
	v_mul_lo_u32 v2, v2, 24
	v_mul_hi_u32 v7, v1, 24
	v_mul_lo_u32 v1, v1, 24
	v_add_nc_u32_e32 v2, v7, v2
	s_waitcnt vmcnt(0)
	v_add_co_u32 v1, vcc_lo, v5, v1
	v_add_co_ci_u32_e32 v2, vcc_lo, v6, v2, vcc_lo
	global_load_dwordx2 v[1:2], v[1:2], off glc dlc
	s_waitcnt vmcnt(0)
	global_atomic_cmpswap_x2 v[6:7], v0, v[1:4], s[26:27] offset:24 glc
	s_waitcnt vmcnt(0)
	buffer_gl1_inv
	buffer_gl0_inv
	v_cmpx_ne_u64_e64 v[6:7], v[3:4]
	s_cbranch_execz .LBB4_1306
; %bb.1303:
	s_mov_b32 s7, 0
	.p2align	6
.LBB4_1304:                             ; =>This Inner Loop Header: Depth=1
	s_sleep 1
	s_clause 0x1
	global_load_dwordx2 v[1:2], v0, s[26:27] offset:40
	global_load_dwordx2 v[8:9], v0, s[26:27]
	v_mov_b32_e32 v3, v6
	v_mov_b32_e32 v4, v7
	s_waitcnt vmcnt(1)
	v_and_b32_e32 v1, v1, v3
	v_and_b32_e32 v2, v2, v4
	s_waitcnt vmcnt(0)
	v_mad_u64_u32 v[5:6], null, v1, 24, v[8:9]
	v_mov_b32_e32 v1, v6
	v_mad_u64_u32 v[1:2], null, v2, 24, v[1:2]
	v_mov_b32_e32 v6, v1
	global_load_dwordx2 v[1:2], v[5:6], off glc dlc
	s_waitcnt vmcnt(0)
	global_atomic_cmpswap_x2 v[6:7], v0, v[1:4], s[26:27] offset:24 glc
	s_waitcnt vmcnt(0)
	buffer_gl1_inv
	buffer_gl0_inv
	v_cmp_eq_u64_e32 vcc_lo, v[6:7], v[3:4]
	s_or_b32 s7, vcc_lo, s7
	s_andn2_b32 exec_lo, exec_lo, s7
	s_cbranch_execnz .LBB4_1304
; %bb.1305:
	s_or_b32 exec_lo, exec_lo, s7
.LBB4_1306:
	s_or_b32 exec_lo, exec_lo, s6
.LBB4_1307:
	s_or_b32 exec_lo, exec_lo, s5
	v_mov_b32_e32 v5, 0
	v_readfirstlane_b32 s6, v6
	v_readfirstlane_b32 s7, v7
	s_mov_b32 s5, exec_lo
	s_clause 0x1
	global_load_dwordx2 v[8:9], v5, s[26:27] offset:40
	global_load_dwordx4 v[0:3], v5, s[26:27]
	s_waitcnt vmcnt(1)
	v_readfirstlane_b32 s10, v8
	v_readfirstlane_b32 s11, v9
	s_and_b64 s[10:11], s[6:7], s[10:11]
	s_mul_i32 s16, s11, 24
	s_mul_hi_u32 s17, s10, 24
	s_mul_i32 s18, s10, 24
	s_add_i32 s17, s17, s16
	s_waitcnt vmcnt(0)
	v_add_co_u32 v8, vcc_lo, v0, s18
	v_add_co_ci_u32_e32 v9, vcc_lo, s17, v1, vcc_lo
	s_and_saveexec_b32 s16, s4
	s_cbranch_execz .LBB4_1309
; %bb.1308:
	v_mov_b32_e32 v4, s5
	v_mov_b32_e32 v6, 2
	;; [unrolled: 1-line block ×3, first 2 shown]
	global_store_dwordx4 v[8:9], v[4:7], off offset:8
.LBB4_1309:
	s_or_b32 exec_lo, exec_lo, s16
	s_lshl_b64 s[10:11], s[10:11], 12
	s_mov_b32 s16, 0
	v_add_co_u32 v2, vcc_lo, v2, s10
	v_add_co_ci_u32_e32 v3, vcc_lo, s11, v3, vcc_lo
	s_mov_b32 s17, s16
	v_add_co_u32 v10, vcc_lo, v2, v39
	s_mov_b32 s18, s16
	s_mov_b32 s19, s16
	v_mov_b32_e32 v4, 33
	v_mov_b32_e32 v6, v5
	;; [unrolled: 1-line block ×3, first 2 shown]
	v_readfirstlane_b32 s10, v2
	v_readfirstlane_b32 s11, v3
	v_mov_b32_e32 v12, s16
	v_add_co_ci_u32_e32 v11, vcc_lo, 0, v3, vcc_lo
	v_mov_b32_e32 v13, s17
	v_mov_b32_e32 v14, s18
	;; [unrolled: 1-line block ×3, first 2 shown]
	global_store_dwordx4 v39, v[4:7], s[10:11]
	global_store_dwordx4 v39, v[12:15], s[10:11] offset:16
	global_store_dwordx4 v39, v[12:15], s[10:11] offset:32
	;; [unrolled: 1-line block ×3, first 2 shown]
	s_and_saveexec_b32 s5, s4
	s_cbranch_execz .LBB4_1317
; %bb.1310:
	v_mov_b32_e32 v6, 0
	v_mov_b32_e32 v12, s6
	;; [unrolled: 1-line block ×3, first 2 shown]
	s_clause 0x1
	global_load_dwordx2 v[14:15], v6, s[26:27] offset:32 glc dlc
	global_load_dwordx2 v[2:3], v6, s[26:27] offset:40
	s_waitcnt vmcnt(0)
	v_readfirstlane_b32 s10, v2
	v_readfirstlane_b32 s11, v3
	s_and_b64 s[10:11], s[10:11], s[6:7]
	s_mul_i32 s11, s11, 24
	s_mul_hi_u32 s16, s10, 24
	s_mul_i32 s10, s10, 24
	s_add_i32 s16, s16, s11
	v_add_co_u32 v4, vcc_lo, v0, s10
	v_add_co_ci_u32_e32 v5, vcc_lo, s16, v1, vcc_lo
	s_mov_b32 s10, exec_lo
	global_store_dwordx2 v[4:5], v[14:15], off
	s_waitcnt_vscnt null, 0x0
	global_atomic_cmpswap_x2 v[2:3], v6, v[12:15], s[26:27] offset:32 glc
	s_waitcnt vmcnt(0)
	v_cmpx_ne_u64_e64 v[2:3], v[14:15]
	s_cbranch_execz .LBB4_1313
; %bb.1311:
	s_mov_b32 s11, 0
.LBB4_1312:                             ; =>This Inner Loop Header: Depth=1
	v_mov_b32_e32 v0, s6
	v_mov_b32_e32 v1, s7
	s_sleep 1
	global_store_dwordx2 v[4:5], v[2:3], off
	s_waitcnt_vscnt null, 0x0
	global_atomic_cmpswap_x2 v[0:1], v6, v[0:3], s[26:27] offset:32 glc
	s_waitcnt vmcnt(0)
	v_cmp_eq_u64_e32 vcc_lo, v[0:1], v[2:3]
	v_mov_b32_e32 v3, v1
	v_mov_b32_e32 v2, v0
	s_or_b32 s11, vcc_lo, s11
	s_andn2_b32 exec_lo, exec_lo, s11
	s_cbranch_execnz .LBB4_1312
.LBB4_1313:
	s_or_b32 exec_lo, exec_lo, s10
	v_mov_b32_e32 v3, 0
	s_mov_b32 s11, exec_lo
	s_mov_b32 s10, exec_lo
	v_mbcnt_lo_u32_b32 v2, s11, 0
	global_load_dwordx2 v[0:1], v3, s[26:27] offset:16
	v_cmpx_eq_u32_e32 0, v2
	s_cbranch_execz .LBB4_1315
; %bb.1314:
	s_bcnt1_i32_b32 s11, s11
	v_mov_b32_e32 v2, s11
	s_waitcnt vmcnt(0)
	global_atomic_add_x2 v[0:1], v[2:3], off offset:8
.LBB4_1315:
	s_or_b32 exec_lo, exec_lo, s10
	s_waitcnt vmcnt(0)
	global_load_dwordx2 v[2:3], v[0:1], off offset:16
	s_waitcnt vmcnt(0)
	v_cmp_eq_u64_e32 vcc_lo, 0, v[2:3]
	s_cbranch_vccnz .LBB4_1317
; %bb.1316:
	global_load_dword v0, v[0:1], off offset:24
	v_mov_b32_e32 v1, 0
	s_waitcnt vmcnt(0)
	v_and_b32_e32 v4, 0x7fffff, v0
	s_waitcnt_vscnt null, 0x0
	global_store_dwordx2 v[2:3], v[0:1], off
	v_readfirstlane_b32 m0, v4
	s_sendmsg sendmsg(MSG_INTERRUPT)
.LBB4_1317:
	s_or_b32 exec_lo, exec_lo, s5
	s_branch .LBB4_1321
	.p2align	6
.LBB4_1318:                             ;   in Loop: Header=BB4_1321 Depth=1
	s_or_b32 exec_lo, exec_lo, s5
	v_readfirstlane_b32 s5, v0
	s_cmp_eq_u32 s5, 0
	s_cbranch_scc1 .LBB4_1320
; %bb.1319:                             ;   in Loop: Header=BB4_1321 Depth=1
	s_sleep 1
	s_cbranch_execnz .LBB4_1321
	s_branch .LBB4_1323
	.p2align	6
.LBB4_1320:
	s_branch .LBB4_1323
.LBB4_1321:                             ; =>This Inner Loop Header: Depth=1
	v_mov_b32_e32 v0, 1
	s_and_saveexec_b32 s5, s4
	s_cbranch_execz .LBB4_1318
; %bb.1322:                             ;   in Loop: Header=BB4_1321 Depth=1
	global_load_dword v0, v[8:9], off offset:20 glc dlc
	s_waitcnt vmcnt(0)
	buffer_gl1_inv
	buffer_gl0_inv
	v_and_b32_e32 v0, 1, v0
	s_branch .LBB4_1318
.LBB4_1323:
	global_load_dwordx2 v[4:5], v[10:11], off
	s_and_saveexec_b32 s5, s4
	s_cbranch_execz .LBB4_1327
; %bb.1324:
	v_mov_b32_e32 v8, 0
	s_clause 0x2
	global_load_dwordx2 v[2:3], v8, s[26:27] offset:40
	global_load_dwordx2 v[9:10], v8, s[26:27] offset:24 glc dlc
	global_load_dwordx2 v[6:7], v8, s[26:27]
	s_waitcnt vmcnt(2)
	v_add_co_u32 v11, vcc_lo, v2, 1
	v_add_co_ci_u32_e32 v12, vcc_lo, 0, v3, vcc_lo
	v_add_co_u32 v0, vcc_lo, v11, s6
	v_add_co_ci_u32_e32 v1, vcc_lo, s7, v12, vcc_lo
	v_cmp_eq_u64_e32 vcc_lo, 0, v[0:1]
	v_cndmask_b32_e32 v1, v1, v12, vcc_lo
	v_cndmask_b32_e32 v0, v0, v11, vcc_lo
	v_and_b32_e32 v3, v1, v3
	v_and_b32_e32 v2, v0, v2
	v_mul_lo_u32 v3, v3, 24
	v_mul_hi_u32 v11, v2, 24
	v_mul_lo_u32 v2, v2, 24
	v_add_nc_u32_e32 v3, v11, v3
	s_waitcnt vmcnt(0)
	v_add_co_u32 v6, vcc_lo, v6, v2
	v_mov_b32_e32 v2, v9
	v_add_co_ci_u32_e32 v7, vcc_lo, v7, v3, vcc_lo
	v_mov_b32_e32 v3, v10
	global_store_dwordx2 v[6:7], v[9:10], off
	s_waitcnt_vscnt null, 0x0
	global_atomic_cmpswap_x2 v[2:3], v8, v[0:3], s[26:27] offset:24 glc
	s_waitcnt vmcnt(0)
	v_cmp_ne_u64_e32 vcc_lo, v[2:3], v[9:10]
	s_and_b32 exec_lo, exec_lo, vcc_lo
	s_cbranch_execz .LBB4_1327
; %bb.1325:
	s_mov_b32 s4, 0
.LBB4_1326:                             ; =>This Inner Loop Header: Depth=1
	s_sleep 1
	global_store_dwordx2 v[6:7], v[2:3], off
	s_waitcnt_vscnt null, 0x0
	global_atomic_cmpswap_x2 v[9:10], v8, v[0:3], s[26:27] offset:24 glc
	s_waitcnt vmcnt(0)
	v_cmp_eq_u64_e32 vcc_lo, v[9:10], v[2:3]
	v_mov_b32_e32 v2, v9
	v_mov_b32_e32 v3, v10
	s_or_b32 s4, vcc_lo, s4
	s_andn2_b32 exec_lo, exec_lo, s4
	s_cbranch_execnz .LBB4_1326
.LBB4_1327:
	s_or_b32 exec_lo, exec_lo, s5
	s_and_b32 vcc_lo, exec_lo, s15
	s_cbranch_vccz .LBB4_1406
; %bb.1328:
	s_waitcnt vmcnt(0)
	v_and_b32_e32 v28, 2, v4
	v_mov_b32_e32 v7, 0
	v_and_b32_e32 v0, -3, v4
	v_mov_b32_e32 v1, v5
	v_mov_b32_e32 v8, 2
	;; [unrolled: 1-line block ×3, first 2 shown]
	s_mov_b64 s[10:11], 3
	s_getpc_b64 s[6:7]
	s_add_u32 s6, s6, .str.5@rel32@lo+4
	s_addc_u32 s7, s7, .str.5@rel32@hi+12
	s_branch .LBB4_1330
.LBB4_1329:                             ;   in Loop: Header=BB4_1330 Depth=1
	s_or_b32 exec_lo, exec_lo, s5
	s_sub_u32 s10, s10, s16
	s_subb_u32 s11, s11, s17
	s_add_u32 s6, s6, s16
	s_addc_u32 s7, s7, s17
	s_cmp_lg_u64 s[10:11], 0
	s_cbranch_scc0 .LBB4_1405
.LBB4_1330:                             ; =>This Loop Header: Depth=1
                                        ;     Child Loop BB4_1339 Depth 2
                                        ;     Child Loop BB4_1335 Depth 2
	;; [unrolled: 1-line block ×11, first 2 shown]
	v_cmp_lt_u64_e64 s4, s[10:11], 56
	v_cmp_gt_u64_e64 s5, s[10:11], 7
                                        ; implicit-def: $vgpr2_vgpr3
                                        ; implicit-def: $sgpr15
	s_and_b32 s4, s4, exec_lo
	s_cselect_b32 s17, s11, 0
	s_cselect_b32 s16, s10, 56
	s_and_b32 vcc_lo, exec_lo, s5
	s_mov_b32 s4, -1
	s_cbranch_vccz .LBB4_1337
; %bb.1331:                             ;   in Loop: Header=BB4_1330 Depth=1
	s_andn2_b32 vcc_lo, exec_lo, s4
	s_mov_b64 s[4:5], s[6:7]
	s_cbranch_vccz .LBB4_1341
.LBB4_1332:                             ;   in Loop: Header=BB4_1330 Depth=1
	s_cmp_gt_u32 s15, 7
	s_cbranch_scc1 .LBB4_1342
.LBB4_1333:                             ;   in Loop: Header=BB4_1330 Depth=1
	v_mov_b32_e32 v10, 0
	v_mov_b32_e32 v11, 0
	s_cmp_eq_u32 s15, 0
	s_cbranch_scc1 .LBB4_1336
; %bb.1334:                             ;   in Loop: Header=BB4_1330 Depth=1
	s_mov_b64 s[18:19], 0
	s_mov_b64 s[20:21], 0
.LBB4_1335:                             ;   Parent Loop BB4_1330 Depth=1
                                        ; =>  This Inner Loop Header: Depth=2
	s_add_u32 s22, s4, s20
	s_addc_u32 s23, s5, s21
	s_add_u32 s20, s20, 1
	global_load_ubyte v6, v7, s[22:23]
	s_addc_u32 s21, s21, 0
	s_waitcnt vmcnt(0)
	v_and_b32_e32 v6, 0xffff, v6
	v_lshlrev_b64 v[12:13], s18, v[6:7]
	s_add_u32 s18, s18, 8
	s_addc_u32 s19, s19, 0
	s_cmp_lg_u32 s15, s20
	v_or_b32_e32 v10, v12, v10
	v_or_b32_e32 v11, v13, v11
	s_cbranch_scc1 .LBB4_1335
.LBB4_1336:                             ;   in Loop: Header=BB4_1330 Depth=1
	s_mov_b32 s22, 0
	s_cbranch_execz .LBB4_1343
	s_branch .LBB4_1344
.LBB4_1337:                             ;   in Loop: Header=BB4_1330 Depth=1
	s_waitcnt vmcnt(0)
	v_mov_b32_e32 v2, 0
	v_mov_b32_e32 v3, 0
	s_cmp_eq_u64 s[10:11], 0
	s_mov_b64 s[4:5], 0
	s_cbranch_scc1 .LBB4_1340
; %bb.1338:                             ;   in Loop: Header=BB4_1330 Depth=1
	v_mov_b32_e32 v2, 0
	v_mov_b32_e32 v3, 0
	s_lshl_b64 s[18:19], s[16:17], 3
	s_mov_b64 s[20:21], s[6:7]
.LBB4_1339:                             ;   Parent Loop BB4_1330 Depth=1
                                        ; =>  This Inner Loop Header: Depth=2
	global_load_ubyte v6, v7, s[20:21]
	s_waitcnt vmcnt(0)
	v_and_b32_e32 v6, 0xffff, v6
	v_lshlrev_b64 v[10:11], s4, v[6:7]
	s_add_u32 s4, s4, 8
	s_addc_u32 s5, s5, 0
	s_add_u32 s20, s20, 1
	s_addc_u32 s21, s21, 0
	s_cmp_lg_u32 s18, s4
	v_or_b32_e32 v2, v10, v2
	v_or_b32_e32 v3, v11, v3
	s_cbranch_scc1 .LBB4_1339
.LBB4_1340:                             ;   in Loop: Header=BB4_1330 Depth=1
	s_mov_b32 s15, 0
	s_mov_b64 s[4:5], s[6:7]
	s_cbranch_execnz .LBB4_1332
.LBB4_1341:                             ;   in Loop: Header=BB4_1330 Depth=1
	global_load_dwordx2 v[2:3], v7, s[6:7]
	s_add_i32 s15, s16, -8
	s_add_u32 s4, s6, 8
	s_addc_u32 s5, s7, 0
	s_cmp_gt_u32 s15, 7
	s_cbranch_scc0 .LBB4_1333
.LBB4_1342:                             ;   in Loop: Header=BB4_1330 Depth=1
                                        ; implicit-def: $vgpr10_vgpr11
                                        ; implicit-def: $sgpr22
.LBB4_1343:                             ;   in Loop: Header=BB4_1330 Depth=1
	global_load_dwordx2 v[10:11], v7, s[4:5]
	s_add_i32 s22, s15, -8
	s_add_u32 s4, s4, 8
	s_addc_u32 s5, s5, 0
.LBB4_1344:                             ;   in Loop: Header=BB4_1330 Depth=1
	s_cmp_gt_u32 s22, 7
	s_cbranch_scc1 .LBB4_1349
; %bb.1345:                             ;   in Loop: Header=BB4_1330 Depth=1
	v_mov_b32_e32 v12, 0
	v_mov_b32_e32 v13, 0
	s_cmp_eq_u32 s22, 0
	s_cbranch_scc1 .LBB4_1348
; %bb.1346:                             ;   in Loop: Header=BB4_1330 Depth=1
	s_mov_b64 s[18:19], 0
	s_mov_b64 s[20:21], 0
.LBB4_1347:                             ;   Parent Loop BB4_1330 Depth=1
                                        ; =>  This Inner Loop Header: Depth=2
	s_add_u32 s24, s4, s20
	s_addc_u32 s25, s5, s21
	s_add_u32 s20, s20, 1
	global_load_ubyte v6, v7, s[24:25]
	s_addc_u32 s21, s21, 0
	s_waitcnt vmcnt(0)
	v_and_b32_e32 v6, 0xffff, v6
	v_lshlrev_b64 v[14:15], s18, v[6:7]
	s_add_u32 s18, s18, 8
	s_addc_u32 s19, s19, 0
	s_cmp_lg_u32 s22, s20
	v_or_b32_e32 v12, v14, v12
	v_or_b32_e32 v13, v15, v13
	s_cbranch_scc1 .LBB4_1347
.LBB4_1348:                             ;   in Loop: Header=BB4_1330 Depth=1
	s_mov_b32 s15, 0
	s_cbranch_execz .LBB4_1350
	s_branch .LBB4_1351
.LBB4_1349:                             ;   in Loop: Header=BB4_1330 Depth=1
                                        ; implicit-def: $sgpr15
.LBB4_1350:                             ;   in Loop: Header=BB4_1330 Depth=1
	global_load_dwordx2 v[12:13], v7, s[4:5]
	s_add_i32 s15, s22, -8
	s_add_u32 s4, s4, 8
	s_addc_u32 s5, s5, 0
.LBB4_1351:                             ;   in Loop: Header=BB4_1330 Depth=1
	s_cmp_gt_u32 s15, 7
	s_cbranch_scc1 .LBB4_1356
; %bb.1352:                             ;   in Loop: Header=BB4_1330 Depth=1
	v_mov_b32_e32 v14, 0
	v_mov_b32_e32 v15, 0
	s_cmp_eq_u32 s15, 0
	s_cbranch_scc1 .LBB4_1355
; %bb.1353:                             ;   in Loop: Header=BB4_1330 Depth=1
	s_mov_b64 s[18:19], 0
	s_mov_b64 s[20:21], 0
.LBB4_1354:                             ;   Parent Loop BB4_1330 Depth=1
                                        ; =>  This Inner Loop Header: Depth=2
	s_add_u32 s22, s4, s20
	s_addc_u32 s23, s5, s21
	s_add_u32 s20, s20, 1
	global_load_ubyte v6, v7, s[22:23]
	s_addc_u32 s21, s21, 0
	s_waitcnt vmcnt(0)
	v_and_b32_e32 v6, 0xffff, v6
	v_lshlrev_b64 v[16:17], s18, v[6:7]
	s_add_u32 s18, s18, 8
	s_addc_u32 s19, s19, 0
	s_cmp_lg_u32 s15, s20
	v_or_b32_e32 v14, v16, v14
	v_or_b32_e32 v15, v17, v15
	s_cbranch_scc1 .LBB4_1354
.LBB4_1355:                             ;   in Loop: Header=BB4_1330 Depth=1
	s_mov_b32 s22, 0
	s_cbranch_execz .LBB4_1357
	s_branch .LBB4_1358
.LBB4_1356:                             ;   in Loop: Header=BB4_1330 Depth=1
                                        ; implicit-def: $vgpr14_vgpr15
                                        ; implicit-def: $sgpr22
.LBB4_1357:                             ;   in Loop: Header=BB4_1330 Depth=1
	global_load_dwordx2 v[14:15], v7, s[4:5]
	s_add_i32 s22, s15, -8
	s_add_u32 s4, s4, 8
	s_addc_u32 s5, s5, 0
.LBB4_1358:                             ;   in Loop: Header=BB4_1330 Depth=1
	s_cmp_gt_u32 s22, 7
	s_cbranch_scc1 .LBB4_1363
; %bb.1359:                             ;   in Loop: Header=BB4_1330 Depth=1
	v_mov_b32_e32 v16, 0
	v_mov_b32_e32 v17, 0
	s_cmp_eq_u32 s22, 0
	s_cbranch_scc1 .LBB4_1362
; %bb.1360:                             ;   in Loop: Header=BB4_1330 Depth=1
	s_mov_b64 s[18:19], 0
	s_mov_b64 s[20:21], 0
.LBB4_1361:                             ;   Parent Loop BB4_1330 Depth=1
                                        ; =>  This Inner Loop Header: Depth=2
	s_add_u32 s24, s4, s20
	s_addc_u32 s25, s5, s21
	s_add_u32 s20, s20, 1
	global_load_ubyte v6, v7, s[24:25]
	s_addc_u32 s21, s21, 0
	s_waitcnt vmcnt(0)
	v_and_b32_e32 v6, 0xffff, v6
	v_lshlrev_b64 v[18:19], s18, v[6:7]
	s_add_u32 s18, s18, 8
	s_addc_u32 s19, s19, 0
	s_cmp_lg_u32 s22, s20
	v_or_b32_e32 v16, v18, v16
	v_or_b32_e32 v17, v19, v17
	s_cbranch_scc1 .LBB4_1361
.LBB4_1362:                             ;   in Loop: Header=BB4_1330 Depth=1
	s_mov_b32 s15, 0
	s_cbranch_execz .LBB4_1364
	s_branch .LBB4_1365
.LBB4_1363:                             ;   in Loop: Header=BB4_1330 Depth=1
                                        ; implicit-def: $sgpr15
.LBB4_1364:                             ;   in Loop: Header=BB4_1330 Depth=1
	global_load_dwordx2 v[16:17], v7, s[4:5]
	s_add_i32 s15, s22, -8
	s_add_u32 s4, s4, 8
	s_addc_u32 s5, s5, 0
.LBB4_1365:                             ;   in Loop: Header=BB4_1330 Depth=1
	s_cmp_gt_u32 s15, 7
	s_cbranch_scc1 .LBB4_1370
; %bb.1366:                             ;   in Loop: Header=BB4_1330 Depth=1
	v_mov_b32_e32 v18, 0
	v_mov_b32_e32 v19, 0
	s_cmp_eq_u32 s15, 0
	s_cbranch_scc1 .LBB4_1369
; %bb.1367:                             ;   in Loop: Header=BB4_1330 Depth=1
	s_mov_b64 s[18:19], 0
	s_mov_b64 s[20:21], 0
.LBB4_1368:                             ;   Parent Loop BB4_1330 Depth=1
                                        ; =>  This Inner Loop Header: Depth=2
	s_add_u32 s22, s4, s20
	s_addc_u32 s23, s5, s21
	s_add_u32 s20, s20, 1
	global_load_ubyte v6, v7, s[22:23]
	s_addc_u32 s21, s21, 0
	s_waitcnt vmcnt(0)
	v_and_b32_e32 v6, 0xffff, v6
	v_lshlrev_b64 v[20:21], s18, v[6:7]
	s_add_u32 s18, s18, 8
	s_addc_u32 s19, s19, 0
	s_cmp_lg_u32 s15, s20
	v_or_b32_e32 v18, v20, v18
	v_or_b32_e32 v19, v21, v19
	s_cbranch_scc1 .LBB4_1368
.LBB4_1369:                             ;   in Loop: Header=BB4_1330 Depth=1
	s_mov_b32 s22, 0
	s_cbranch_execz .LBB4_1371
	s_branch .LBB4_1372
.LBB4_1370:                             ;   in Loop: Header=BB4_1330 Depth=1
                                        ; implicit-def: $vgpr18_vgpr19
                                        ; implicit-def: $sgpr22
.LBB4_1371:                             ;   in Loop: Header=BB4_1330 Depth=1
	global_load_dwordx2 v[18:19], v7, s[4:5]
	s_add_i32 s22, s15, -8
	s_add_u32 s4, s4, 8
	s_addc_u32 s5, s5, 0
.LBB4_1372:                             ;   in Loop: Header=BB4_1330 Depth=1
	s_cmp_gt_u32 s22, 7
	s_cbranch_scc1 .LBB4_1377
; %bb.1373:                             ;   in Loop: Header=BB4_1330 Depth=1
	v_mov_b32_e32 v20, 0
	v_mov_b32_e32 v21, 0
	s_cmp_eq_u32 s22, 0
	s_cbranch_scc1 .LBB4_1376
; %bb.1374:                             ;   in Loop: Header=BB4_1330 Depth=1
	s_mov_b64 s[18:19], 0
	s_mov_b64 s[20:21], s[4:5]
.LBB4_1375:                             ;   Parent Loop BB4_1330 Depth=1
                                        ; =>  This Inner Loop Header: Depth=2
	global_load_ubyte v6, v7, s[20:21]
	s_add_i32 s22, s22, -1
	s_waitcnt vmcnt(0)
	v_and_b32_e32 v6, 0xffff, v6
	v_lshlrev_b64 v[22:23], s18, v[6:7]
	s_add_u32 s18, s18, 8
	s_addc_u32 s19, s19, 0
	s_add_u32 s20, s20, 1
	s_addc_u32 s21, s21, 0
	s_cmp_lg_u32 s22, 0
	v_or_b32_e32 v20, v22, v20
	v_or_b32_e32 v21, v23, v21
	s_cbranch_scc1 .LBB4_1375
.LBB4_1376:                             ;   in Loop: Header=BB4_1330 Depth=1
	s_cbranch_execz .LBB4_1378
	s_branch .LBB4_1379
.LBB4_1377:                             ;   in Loop: Header=BB4_1330 Depth=1
.LBB4_1378:                             ;   in Loop: Header=BB4_1330 Depth=1
	global_load_dwordx2 v[20:21], v7, s[4:5]
.LBB4_1379:                             ;   in Loop: Header=BB4_1330 Depth=1
	v_readfirstlane_b32 s4, v50
	v_mov_b32_e32 v26, 0
	v_mov_b32_e32 v27, 0
	v_cmp_eq_u32_e64 s4, s4, v50
	s_and_saveexec_b32 s5, s4
	s_cbranch_execz .LBB4_1385
; %bb.1380:                             ;   in Loop: Header=BB4_1330 Depth=1
	global_load_dwordx2 v[24:25], v7, s[26:27] offset:24 glc dlc
	s_waitcnt vmcnt(0)
	buffer_gl1_inv
	buffer_gl0_inv
	s_clause 0x1
	global_load_dwordx2 v[22:23], v7, s[26:27] offset:40
	global_load_dwordx2 v[26:27], v7, s[26:27]
	s_mov_b32 s15, exec_lo
	s_waitcnt vmcnt(1)
	v_and_b32_e32 v6, v23, v25
	v_and_b32_e32 v22, v22, v24
	v_mul_lo_u32 v6, v6, 24
	v_mul_hi_u32 v23, v22, 24
	v_mul_lo_u32 v22, v22, 24
	v_add_nc_u32_e32 v6, v23, v6
	s_waitcnt vmcnt(0)
	v_add_co_u32 v22, vcc_lo, v26, v22
	v_add_co_ci_u32_e32 v23, vcc_lo, v27, v6, vcc_lo
	global_load_dwordx2 v[22:23], v[22:23], off glc dlc
	s_waitcnt vmcnt(0)
	global_atomic_cmpswap_x2 v[26:27], v7, v[22:25], s[26:27] offset:24 glc
	s_waitcnt vmcnt(0)
	buffer_gl1_inv
	buffer_gl0_inv
	v_cmpx_ne_u64_e64 v[26:27], v[24:25]
	s_cbranch_execz .LBB4_1384
; %bb.1381:                             ;   in Loop: Header=BB4_1330 Depth=1
	s_mov_b32 s18, 0
	.p2align	6
.LBB4_1382:                             ;   Parent Loop BB4_1330 Depth=1
                                        ; =>  This Inner Loop Header: Depth=2
	s_sleep 1
	s_clause 0x1
	global_load_dwordx2 v[22:23], v7, s[26:27] offset:40
	global_load_dwordx2 v[29:30], v7, s[26:27]
	v_mov_b32_e32 v24, v26
	v_mov_b32_e32 v25, v27
	s_waitcnt vmcnt(1)
	v_and_b32_e32 v6, v22, v24
	v_and_b32_e32 v22, v23, v25
	s_waitcnt vmcnt(0)
	v_mad_u64_u32 v[26:27], null, v6, 24, v[29:30]
	v_mov_b32_e32 v6, v27
	v_mad_u64_u32 v[22:23], null, v22, 24, v[6:7]
	v_mov_b32_e32 v27, v22
	global_load_dwordx2 v[22:23], v[26:27], off glc dlc
	s_waitcnt vmcnt(0)
	global_atomic_cmpswap_x2 v[26:27], v7, v[22:25], s[26:27] offset:24 glc
	s_waitcnt vmcnt(0)
	buffer_gl1_inv
	buffer_gl0_inv
	v_cmp_eq_u64_e32 vcc_lo, v[26:27], v[24:25]
	s_or_b32 s18, vcc_lo, s18
	s_andn2_b32 exec_lo, exec_lo, s18
	s_cbranch_execnz .LBB4_1382
; %bb.1383:                             ;   in Loop: Header=BB4_1330 Depth=1
	s_or_b32 exec_lo, exec_lo, s18
.LBB4_1384:                             ;   in Loop: Header=BB4_1330 Depth=1
	s_or_b32 exec_lo, exec_lo, s15
.LBB4_1385:                             ;   in Loop: Header=BB4_1330 Depth=1
	s_or_b32 exec_lo, exec_lo, s5
	s_clause 0x1
	global_load_dwordx2 v[29:30], v7, s[26:27] offset:40
	global_load_dwordx4 v[22:25], v7, s[26:27]
	v_readfirstlane_b32 s18, v26
	v_readfirstlane_b32 s19, v27
	s_mov_b32 s5, exec_lo
	s_waitcnt vmcnt(1)
	v_readfirstlane_b32 s20, v29
	v_readfirstlane_b32 s21, v30
	s_and_b64 s[20:21], s[18:19], s[20:21]
	s_mul_i32 s15, s21, 24
	s_mul_hi_u32 s22, s20, 24
	s_mul_i32 s23, s20, 24
	s_add_i32 s22, s22, s15
	s_waitcnt vmcnt(0)
	v_add_co_u32 v26, vcc_lo, v22, s23
	v_add_co_ci_u32_e32 v27, vcc_lo, s22, v23, vcc_lo
	s_and_saveexec_b32 s15, s4
	s_cbranch_execz .LBB4_1387
; %bb.1386:                             ;   in Loop: Header=BB4_1330 Depth=1
	v_mov_b32_e32 v6, s5
	global_store_dwordx4 v[26:27], v[6:9], off offset:8
.LBB4_1387:                             ;   in Loop: Header=BB4_1330 Depth=1
	s_or_b32 exec_lo, exec_lo, s15
	s_lshl_b64 s[20:21], s[20:21], 12
	v_cmp_gt_u64_e64 vcc_lo, s[10:11], 56
	v_or_b32_e32 v29, v0, v28
	v_add_co_u32 v24, s5, v24, s20
	v_add_co_ci_u32_e64 v25, s5, s21, v25, s5
	s_lshl_b32 s5, s16, 2
	v_or_b32_e32 v6, 0, v1
	v_cndmask_b32_e32 v0, v29, v0, vcc_lo
	s_add_i32 s5, s5, 28
	v_readfirstlane_b32 s20, v24
	s_and_b32 s5, s5, 0x1e0
	v_cndmask_b32_e32 v1, v6, v1, vcc_lo
	v_readfirstlane_b32 s21, v25
	v_and_or_b32 v0, 0xffffff1f, v0, s5
	global_store_dwordx4 v39, v[0:3], s[20:21]
	global_store_dwordx4 v39, v[10:13], s[20:21] offset:16
	global_store_dwordx4 v39, v[14:17], s[20:21] offset:32
	;; [unrolled: 1-line block ×3, first 2 shown]
	s_and_saveexec_b32 s5, s4
	s_cbranch_execz .LBB4_1395
; %bb.1388:                             ;   in Loop: Header=BB4_1330 Depth=1
	s_clause 0x1
	global_load_dwordx2 v[14:15], v7, s[26:27] offset:32 glc dlc
	global_load_dwordx2 v[0:1], v7, s[26:27] offset:40
	v_mov_b32_e32 v12, s18
	v_mov_b32_e32 v13, s19
	s_waitcnt vmcnt(0)
	v_readfirstlane_b32 s20, v0
	v_readfirstlane_b32 s21, v1
	s_and_b64 s[20:21], s[20:21], s[18:19]
	s_mul_i32 s15, s21, 24
	s_mul_hi_u32 s21, s20, 24
	s_mul_i32 s20, s20, 24
	s_add_i32 s21, s21, s15
	v_add_co_u32 v10, vcc_lo, v22, s20
	v_add_co_ci_u32_e32 v11, vcc_lo, s21, v23, vcc_lo
	s_mov_b32 s15, exec_lo
	global_store_dwordx2 v[10:11], v[14:15], off
	s_waitcnt_vscnt null, 0x0
	global_atomic_cmpswap_x2 v[2:3], v7, v[12:15], s[26:27] offset:32 glc
	s_waitcnt vmcnt(0)
	v_cmpx_ne_u64_e64 v[2:3], v[14:15]
	s_cbranch_execz .LBB4_1391
; %bb.1389:                             ;   in Loop: Header=BB4_1330 Depth=1
	s_mov_b32 s20, 0
.LBB4_1390:                             ;   Parent Loop BB4_1330 Depth=1
                                        ; =>  This Inner Loop Header: Depth=2
	v_mov_b32_e32 v0, s18
	v_mov_b32_e32 v1, s19
	s_sleep 1
	global_store_dwordx2 v[10:11], v[2:3], off
	s_waitcnt_vscnt null, 0x0
	global_atomic_cmpswap_x2 v[0:1], v7, v[0:3], s[26:27] offset:32 glc
	s_waitcnt vmcnt(0)
	v_cmp_eq_u64_e32 vcc_lo, v[0:1], v[2:3]
	v_mov_b32_e32 v3, v1
	v_mov_b32_e32 v2, v0
	s_or_b32 s20, vcc_lo, s20
	s_andn2_b32 exec_lo, exec_lo, s20
	s_cbranch_execnz .LBB4_1390
.LBB4_1391:                             ;   in Loop: Header=BB4_1330 Depth=1
	s_or_b32 exec_lo, exec_lo, s15
	global_load_dwordx2 v[0:1], v7, s[26:27] offset:16
	s_mov_b32 s20, exec_lo
	s_mov_b32 s15, exec_lo
	v_mbcnt_lo_u32_b32 v2, s20, 0
	v_cmpx_eq_u32_e32 0, v2
	s_cbranch_execz .LBB4_1393
; %bb.1392:                             ;   in Loop: Header=BB4_1330 Depth=1
	s_bcnt1_i32_b32 s20, s20
	v_mov_b32_e32 v6, s20
	s_waitcnt vmcnt(0)
	global_atomic_add_x2 v[0:1], v[6:7], off offset:8
.LBB4_1393:                             ;   in Loop: Header=BB4_1330 Depth=1
	s_or_b32 exec_lo, exec_lo, s15
	s_waitcnt vmcnt(0)
	global_load_dwordx2 v[2:3], v[0:1], off offset:16
	s_waitcnt vmcnt(0)
	v_cmp_eq_u64_e32 vcc_lo, 0, v[2:3]
	s_cbranch_vccnz .LBB4_1395
; %bb.1394:                             ;   in Loop: Header=BB4_1330 Depth=1
	global_load_dword v6, v[0:1], off offset:24
	s_waitcnt vmcnt(0)
	v_and_b32_e32 v0, 0x7fffff, v6
	s_waitcnt_vscnt null, 0x0
	global_store_dwordx2 v[2:3], v[6:7], off
	v_readfirstlane_b32 m0, v0
	s_sendmsg sendmsg(MSG_INTERRUPT)
.LBB4_1395:                             ;   in Loop: Header=BB4_1330 Depth=1
	s_or_b32 exec_lo, exec_lo, s5
	v_add_co_u32 v0, vcc_lo, v24, v39
	v_add_co_ci_u32_e32 v1, vcc_lo, 0, v25, vcc_lo
	s_branch .LBB4_1399
	.p2align	6
.LBB4_1396:                             ;   in Loop: Header=BB4_1399 Depth=2
	s_or_b32 exec_lo, exec_lo, s5
	v_readfirstlane_b32 s5, v2
	s_cmp_eq_u32 s5, 0
	s_cbranch_scc1 .LBB4_1398
; %bb.1397:                             ;   in Loop: Header=BB4_1399 Depth=2
	s_sleep 1
	s_cbranch_execnz .LBB4_1399
	s_branch .LBB4_1401
	.p2align	6
.LBB4_1398:                             ;   in Loop: Header=BB4_1330 Depth=1
	s_branch .LBB4_1401
.LBB4_1399:                             ;   Parent Loop BB4_1330 Depth=1
                                        ; =>  This Inner Loop Header: Depth=2
	v_mov_b32_e32 v2, 1
	s_and_saveexec_b32 s5, s4
	s_cbranch_execz .LBB4_1396
; %bb.1400:                             ;   in Loop: Header=BB4_1399 Depth=2
	global_load_dword v2, v[26:27], off offset:20 glc dlc
	s_waitcnt vmcnt(0)
	buffer_gl1_inv
	buffer_gl0_inv
	v_and_b32_e32 v2, 1, v2
	s_branch .LBB4_1396
.LBB4_1401:                             ;   in Loop: Header=BB4_1330 Depth=1
	global_load_dwordx4 v[0:3], v[0:1], off
	s_and_saveexec_b32 s5, s4
	s_cbranch_execz .LBB4_1329
; %bb.1402:                             ;   in Loop: Header=BB4_1330 Depth=1
	s_clause 0x2
	global_load_dwordx2 v[2:3], v7, s[26:27] offset:40
	global_load_dwordx2 v[14:15], v7, s[26:27] offset:24 glc dlc
	global_load_dwordx2 v[12:13], v7, s[26:27]
	s_waitcnt vmcnt(2)
	v_add_co_u32 v6, vcc_lo, v2, 1
	v_add_co_ci_u32_e32 v16, vcc_lo, 0, v3, vcc_lo
	v_add_co_u32 v10, vcc_lo, v6, s18
	v_add_co_ci_u32_e32 v11, vcc_lo, s19, v16, vcc_lo
	v_cmp_eq_u64_e32 vcc_lo, 0, v[10:11]
	v_cndmask_b32_e32 v11, v11, v16, vcc_lo
	v_cndmask_b32_e32 v10, v10, v6, vcc_lo
	v_and_b32_e32 v3, v11, v3
	v_and_b32_e32 v2, v10, v2
	v_mul_lo_u32 v3, v3, 24
	v_mul_hi_u32 v6, v2, 24
	v_mul_lo_u32 v2, v2, 24
	v_add_nc_u32_e32 v3, v6, v3
	s_waitcnt vmcnt(0)
	v_add_co_u32 v2, vcc_lo, v12, v2
	v_mov_b32_e32 v12, v14
	v_add_co_ci_u32_e32 v3, vcc_lo, v13, v3, vcc_lo
	v_mov_b32_e32 v13, v15
	global_store_dwordx2 v[2:3], v[14:15], off
	s_waitcnt_vscnt null, 0x0
	global_atomic_cmpswap_x2 v[12:13], v7, v[10:13], s[26:27] offset:24 glc
	s_waitcnt vmcnt(0)
	v_cmp_ne_u64_e32 vcc_lo, v[12:13], v[14:15]
	s_and_b32 exec_lo, exec_lo, vcc_lo
	s_cbranch_execz .LBB4_1329
; %bb.1403:                             ;   in Loop: Header=BB4_1330 Depth=1
	s_mov_b32 s4, 0
.LBB4_1404:                             ;   Parent Loop BB4_1330 Depth=1
                                        ; =>  This Inner Loop Header: Depth=2
	s_sleep 1
	global_store_dwordx2 v[2:3], v[12:13], off
	s_waitcnt_vscnt null, 0x0
	global_atomic_cmpswap_x2 v[14:15], v7, v[10:13], s[26:27] offset:24 glc
	s_waitcnt vmcnt(0)
	v_cmp_eq_u64_e32 vcc_lo, v[14:15], v[12:13]
	v_mov_b32_e32 v12, v14
	v_mov_b32_e32 v13, v15
	s_or_b32 s4, vcc_lo, s4
	s_andn2_b32 exec_lo, exec_lo, s4
	s_cbranch_execnz .LBB4_1404
	s_branch .LBB4_1329
.LBB4_1405:
	s_branch .LBB4_1434
.LBB4_1406:
                                        ; implicit-def: $vgpr0_vgpr1
	s_cbranch_execz .LBB4_1434
; %bb.1407:
	v_readfirstlane_b32 s4, v50
	v_mov_b32_e32 v7, 0
	v_mov_b32_e32 v8, 0
	v_cmp_eq_u32_e64 s4, s4, v50
	s_and_saveexec_b32 s5, s4
	s_cbranch_execz .LBB4_1413
; %bb.1408:
	s_waitcnt vmcnt(0)
	v_mov_b32_e32 v0, 0
	s_mov_b32 s6, exec_lo
	global_load_dwordx2 v[9:10], v0, s[26:27] offset:24 glc dlc
	s_waitcnt vmcnt(0)
	buffer_gl1_inv
	buffer_gl0_inv
	s_clause 0x1
	global_load_dwordx2 v[1:2], v0, s[26:27] offset:40
	global_load_dwordx2 v[6:7], v0, s[26:27]
	s_waitcnt vmcnt(1)
	v_and_b32_e32 v2, v2, v10
	v_and_b32_e32 v1, v1, v9
	v_mul_lo_u32 v2, v2, 24
	v_mul_hi_u32 v3, v1, 24
	v_mul_lo_u32 v1, v1, 24
	v_add_nc_u32_e32 v2, v3, v2
	s_waitcnt vmcnt(0)
	v_add_co_u32 v1, vcc_lo, v6, v1
	v_add_co_ci_u32_e32 v2, vcc_lo, v7, v2, vcc_lo
	global_load_dwordx2 v[7:8], v[1:2], off glc dlc
	s_waitcnt vmcnt(0)
	global_atomic_cmpswap_x2 v[7:8], v0, v[7:10], s[26:27] offset:24 glc
	s_waitcnt vmcnt(0)
	buffer_gl1_inv
	buffer_gl0_inv
	v_cmpx_ne_u64_e64 v[7:8], v[9:10]
	s_cbranch_execz .LBB4_1412
; %bb.1409:
	s_mov_b32 s7, 0
	.p2align	6
.LBB4_1410:                             ; =>This Inner Loop Header: Depth=1
	s_sleep 1
	s_clause 0x1
	global_load_dwordx2 v[1:2], v0, s[26:27] offset:40
	global_load_dwordx2 v[11:12], v0, s[26:27]
	v_mov_b32_e32 v10, v8
	v_mov_b32_e32 v9, v7
	s_waitcnt vmcnt(1)
	v_and_b32_e32 v1, v1, v9
	v_and_b32_e32 v2, v2, v10
	s_waitcnt vmcnt(0)
	v_mad_u64_u32 v[6:7], null, v1, 24, v[11:12]
	v_mov_b32_e32 v1, v7
	v_mad_u64_u32 v[1:2], null, v2, 24, v[1:2]
	v_mov_b32_e32 v7, v1
	global_load_dwordx2 v[7:8], v[6:7], off glc dlc
	s_waitcnt vmcnt(0)
	global_atomic_cmpswap_x2 v[7:8], v0, v[7:10], s[26:27] offset:24 glc
	s_waitcnt vmcnt(0)
	buffer_gl1_inv
	buffer_gl0_inv
	v_cmp_eq_u64_e32 vcc_lo, v[7:8], v[9:10]
	s_or_b32 s7, vcc_lo, s7
	s_andn2_b32 exec_lo, exec_lo, s7
	s_cbranch_execnz .LBB4_1410
; %bb.1411:
	s_or_b32 exec_lo, exec_lo, s7
.LBB4_1412:
	s_or_b32 exec_lo, exec_lo, s6
.LBB4_1413:
	s_or_b32 exec_lo, exec_lo, s5
	v_mov_b32_e32 v6, 0
	v_readfirstlane_b32 s6, v7
	v_readfirstlane_b32 s7, v8
	s_mov_b32 s5, exec_lo
	s_clause 0x1
	global_load_dwordx2 v[9:10], v6, s[26:27] offset:40
	global_load_dwordx4 v[0:3], v6, s[26:27]
	s_waitcnt vmcnt(1)
	v_readfirstlane_b32 s10, v9
	v_readfirstlane_b32 s11, v10
	s_and_b64 s[10:11], s[6:7], s[10:11]
	s_mul_i32 s15, s11, 24
	s_mul_hi_u32 s16, s10, 24
	s_mul_i32 s17, s10, 24
	s_add_i32 s16, s16, s15
	s_waitcnt vmcnt(0)
	v_add_co_u32 v8, vcc_lo, v0, s17
	v_add_co_ci_u32_e32 v9, vcc_lo, s16, v1, vcc_lo
	s_and_saveexec_b32 s15, s4
	s_cbranch_execz .LBB4_1415
; %bb.1414:
	v_mov_b32_e32 v10, s5
	v_mov_b32_e32 v11, v6
	;; [unrolled: 1-line block ×4, first 2 shown]
	global_store_dwordx4 v[8:9], v[10:13], off offset:8
.LBB4_1415:
	s_or_b32 exec_lo, exec_lo, s15
	s_lshl_b64 s[10:11], s[10:11], 12
	s_mov_b32 s16, 0
	v_add_co_u32 v2, vcc_lo, v2, s10
	v_add_co_ci_u32_e32 v3, vcc_lo, s11, v3, vcc_lo
	s_mov_b32 s17, s16
	v_add_co_u32 v10, vcc_lo, v2, v39
	s_mov_b32 s18, s16
	s_mov_b32 s19, s16
	v_and_or_b32 v4, 0xffffff1f, v4, 32
	v_mov_b32_e32 v7, v6
	v_readfirstlane_b32 s10, v2
	v_readfirstlane_b32 s11, v3
	v_mov_b32_e32 v12, s16
	v_add_co_ci_u32_e32 v11, vcc_lo, 0, v3, vcc_lo
	v_mov_b32_e32 v13, s17
	v_mov_b32_e32 v14, s18
	;; [unrolled: 1-line block ×3, first 2 shown]
	global_store_dwordx4 v39, v[4:7], s[10:11]
	global_store_dwordx4 v39, v[12:15], s[10:11] offset:16
	global_store_dwordx4 v39, v[12:15], s[10:11] offset:32
	;; [unrolled: 1-line block ×3, first 2 shown]
	s_and_saveexec_b32 s5, s4
	s_cbranch_execz .LBB4_1423
; %bb.1416:
	v_mov_b32_e32 v6, 0
	v_mov_b32_e32 v12, s6
	v_mov_b32_e32 v13, s7
	s_clause 0x1
	global_load_dwordx2 v[14:15], v6, s[26:27] offset:32 glc dlc
	global_load_dwordx2 v[2:3], v6, s[26:27] offset:40
	s_waitcnt vmcnt(0)
	v_readfirstlane_b32 s10, v2
	v_readfirstlane_b32 s11, v3
	s_and_b64 s[10:11], s[10:11], s[6:7]
	s_mul_i32 s11, s11, 24
	s_mul_hi_u32 s15, s10, 24
	s_mul_i32 s10, s10, 24
	s_add_i32 s15, s15, s11
	v_add_co_u32 v4, vcc_lo, v0, s10
	v_add_co_ci_u32_e32 v5, vcc_lo, s15, v1, vcc_lo
	s_mov_b32 s10, exec_lo
	global_store_dwordx2 v[4:5], v[14:15], off
	s_waitcnt_vscnt null, 0x0
	global_atomic_cmpswap_x2 v[2:3], v6, v[12:15], s[26:27] offset:32 glc
	s_waitcnt vmcnt(0)
	v_cmpx_ne_u64_e64 v[2:3], v[14:15]
	s_cbranch_execz .LBB4_1419
; %bb.1417:
	s_mov_b32 s11, 0
.LBB4_1418:                             ; =>This Inner Loop Header: Depth=1
	v_mov_b32_e32 v0, s6
	v_mov_b32_e32 v1, s7
	s_sleep 1
	global_store_dwordx2 v[4:5], v[2:3], off
	s_waitcnt_vscnt null, 0x0
	global_atomic_cmpswap_x2 v[0:1], v6, v[0:3], s[26:27] offset:32 glc
	s_waitcnt vmcnt(0)
	v_cmp_eq_u64_e32 vcc_lo, v[0:1], v[2:3]
	v_mov_b32_e32 v3, v1
	v_mov_b32_e32 v2, v0
	s_or_b32 s11, vcc_lo, s11
	s_andn2_b32 exec_lo, exec_lo, s11
	s_cbranch_execnz .LBB4_1418
.LBB4_1419:
	s_or_b32 exec_lo, exec_lo, s10
	v_mov_b32_e32 v3, 0
	s_mov_b32 s11, exec_lo
	s_mov_b32 s10, exec_lo
	v_mbcnt_lo_u32_b32 v2, s11, 0
	global_load_dwordx2 v[0:1], v3, s[26:27] offset:16
	v_cmpx_eq_u32_e32 0, v2
	s_cbranch_execz .LBB4_1421
; %bb.1420:
	s_bcnt1_i32_b32 s11, s11
	v_mov_b32_e32 v2, s11
	s_waitcnt vmcnt(0)
	global_atomic_add_x2 v[0:1], v[2:3], off offset:8
.LBB4_1421:
	s_or_b32 exec_lo, exec_lo, s10
	s_waitcnt vmcnt(0)
	global_load_dwordx2 v[2:3], v[0:1], off offset:16
	s_waitcnt vmcnt(0)
	v_cmp_eq_u64_e32 vcc_lo, 0, v[2:3]
	s_cbranch_vccnz .LBB4_1423
; %bb.1422:
	global_load_dword v0, v[0:1], off offset:24
	v_mov_b32_e32 v1, 0
	s_waitcnt vmcnt(0)
	v_and_b32_e32 v4, 0x7fffff, v0
	s_waitcnt_vscnt null, 0x0
	global_store_dwordx2 v[2:3], v[0:1], off
	v_readfirstlane_b32 m0, v4
	s_sendmsg sendmsg(MSG_INTERRUPT)
.LBB4_1423:
	s_or_b32 exec_lo, exec_lo, s5
	s_branch .LBB4_1427
	.p2align	6
.LBB4_1424:                             ;   in Loop: Header=BB4_1427 Depth=1
	s_or_b32 exec_lo, exec_lo, s5
	v_readfirstlane_b32 s5, v0
	s_cmp_eq_u32 s5, 0
	s_cbranch_scc1 .LBB4_1426
; %bb.1425:                             ;   in Loop: Header=BB4_1427 Depth=1
	s_sleep 1
	s_cbranch_execnz .LBB4_1427
	s_branch .LBB4_1429
	.p2align	6
.LBB4_1426:
	s_branch .LBB4_1429
.LBB4_1427:                             ; =>This Inner Loop Header: Depth=1
	v_mov_b32_e32 v0, 1
	s_and_saveexec_b32 s5, s4
	s_cbranch_execz .LBB4_1424
; %bb.1428:                             ;   in Loop: Header=BB4_1427 Depth=1
	global_load_dword v0, v[8:9], off offset:20 glc dlc
	s_waitcnt vmcnt(0)
	buffer_gl1_inv
	buffer_gl0_inv
	v_and_b32_e32 v0, 1, v0
	s_branch .LBB4_1424
.LBB4_1429:
	global_load_dwordx2 v[0:1], v[10:11], off
	s_and_saveexec_b32 s5, s4
	s_cbranch_execz .LBB4_1433
; %bb.1430:
	v_mov_b32_e32 v8, 0
	s_clause 0x2
	global_load_dwordx2 v[4:5], v8, s[26:27] offset:40
	global_load_dwordx2 v[9:10], v8, s[26:27] offset:24 glc dlc
	global_load_dwordx2 v[6:7], v8, s[26:27]
	s_waitcnt vmcnt(2)
	v_add_co_u32 v11, vcc_lo, v4, 1
	v_add_co_ci_u32_e32 v12, vcc_lo, 0, v5, vcc_lo
	v_add_co_u32 v2, vcc_lo, v11, s6
	v_add_co_ci_u32_e32 v3, vcc_lo, s7, v12, vcc_lo
	v_cmp_eq_u64_e32 vcc_lo, 0, v[2:3]
	v_cndmask_b32_e32 v3, v3, v12, vcc_lo
	v_cndmask_b32_e32 v2, v2, v11, vcc_lo
	v_and_b32_e32 v5, v3, v5
	v_and_b32_e32 v4, v2, v4
	v_mul_lo_u32 v5, v5, 24
	v_mul_hi_u32 v11, v4, 24
	v_mul_lo_u32 v4, v4, 24
	v_add_nc_u32_e32 v5, v11, v5
	s_waitcnt vmcnt(0)
	v_add_co_u32 v6, vcc_lo, v6, v4
	v_mov_b32_e32 v4, v9
	v_add_co_ci_u32_e32 v7, vcc_lo, v7, v5, vcc_lo
	v_mov_b32_e32 v5, v10
	global_store_dwordx2 v[6:7], v[9:10], off
	s_waitcnt_vscnt null, 0x0
	global_atomic_cmpswap_x2 v[4:5], v8, v[2:5], s[26:27] offset:24 glc
	s_waitcnt vmcnt(0)
	v_cmp_ne_u64_e32 vcc_lo, v[4:5], v[9:10]
	s_and_b32 exec_lo, exec_lo, vcc_lo
	s_cbranch_execz .LBB4_1433
; %bb.1431:
	s_mov_b32 s4, 0
.LBB4_1432:                             ; =>This Inner Loop Header: Depth=1
	s_sleep 1
	global_store_dwordx2 v[6:7], v[4:5], off
	s_waitcnt_vscnt null, 0x0
	global_atomic_cmpswap_x2 v[9:10], v8, v[2:5], s[26:27] offset:24 glc
	s_waitcnt vmcnt(0)
	v_cmp_eq_u64_e32 vcc_lo, v[9:10], v[4:5]
	v_mov_b32_e32 v4, v9
	v_mov_b32_e32 v5, v10
	s_or_b32 s4, vcc_lo, s4
	s_andn2_b32 exec_lo, exec_lo, s4
	s_cbranch_execnz .LBB4_1432
.LBB4_1433:
	s_or_b32 exec_lo, exec_lo, s5
.LBB4_1434:
	s_getpc_b64 s[6:7]
	s_add_u32 s6, s6, .str.2@rel32@lo+4
	s_addc_u32 s7, s7, .str.2@rel32@hi+12
	s_cmp_lg_u64 s[6:7], 0
	s_cbranch_scc0 .LBB4_1513
; %bb.1435:
	s_waitcnt vmcnt(0)
	v_and_b32_e32 v6, -3, v0
	v_mov_b32_e32 v7, v1
	v_mov_b32_e32 v3, 0
	;; [unrolled: 1-line block ×4, first 2 shown]
	s_mov_b64 s[10:11], 13
	s_branch .LBB4_1437
.LBB4_1436:                             ;   in Loop: Header=BB4_1437 Depth=1
	s_or_b32 exec_lo, exec_lo, s5
	s_sub_u32 s10, s10, s16
	s_subb_u32 s11, s11, s17
	s_add_u32 s6, s6, s16
	s_addc_u32 s7, s7, s17
	s_cmp_lg_u64 s[10:11], 0
	s_cbranch_scc0 .LBB4_1512
.LBB4_1437:                             ; =>This Loop Header: Depth=1
                                        ;     Child Loop BB4_1446 Depth 2
                                        ;     Child Loop BB4_1442 Depth 2
                                        ;     Child Loop BB4_1454 Depth 2
                                        ;     Child Loop BB4_1461 Depth 2
                                        ;     Child Loop BB4_1468 Depth 2
                                        ;     Child Loop BB4_1475 Depth 2
                                        ;     Child Loop BB4_1482 Depth 2
                                        ;     Child Loop BB4_1489 Depth 2
                                        ;     Child Loop BB4_1497 Depth 2
                                        ;     Child Loop BB4_1506 Depth 2
                                        ;     Child Loop BB4_1511 Depth 2
	v_cmp_lt_u64_e64 s4, s[10:11], 56
	v_cmp_gt_u64_e64 s5, s[10:11], 7
                                        ; implicit-def: $sgpr15
	s_and_b32 s4, s4, exec_lo
	s_cselect_b32 s17, s11, 0
	s_cselect_b32 s16, s10, 56
	s_and_b32 vcc_lo, exec_lo, s5
	s_mov_b32 s4, -1
	s_cbranch_vccz .LBB4_1444
; %bb.1438:                             ;   in Loop: Header=BB4_1437 Depth=1
	s_andn2_b32 vcc_lo, exec_lo, s4
	s_mov_b64 s[4:5], s[6:7]
	s_cbranch_vccz .LBB4_1448
.LBB4_1439:                             ;   in Loop: Header=BB4_1437 Depth=1
	s_cmp_gt_u32 s15, 7
	s_cbranch_scc1 .LBB4_1449
.LBB4_1440:                             ;   in Loop: Header=BB4_1437 Depth=1
	v_mov_b32_e32 v10, 0
	v_mov_b32_e32 v11, 0
	s_cmp_eq_u32 s15, 0
	s_cbranch_scc1 .LBB4_1443
; %bb.1441:                             ;   in Loop: Header=BB4_1437 Depth=1
	s_mov_b64 s[18:19], 0
	s_mov_b64 s[20:21], 0
.LBB4_1442:                             ;   Parent Loop BB4_1437 Depth=1
                                        ; =>  This Inner Loop Header: Depth=2
	s_add_u32 s22, s4, s20
	s_addc_u32 s23, s5, s21
	s_add_u32 s20, s20, 1
	global_load_ubyte v2, v3, s[22:23]
	s_addc_u32 s21, s21, 0
	s_waitcnt vmcnt(0)
	v_and_b32_e32 v2, 0xffff, v2
	v_lshlrev_b64 v[12:13], s18, v[2:3]
	s_add_u32 s18, s18, 8
	s_addc_u32 s19, s19, 0
	s_cmp_lg_u32 s15, s20
	v_or_b32_e32 v10, v12, v10
	v_or_b32_e32 v11, v13, v11
	s_cbranch_scc1 .LBB4_1442
.LBB4_1443:                             ;   in Loop: Header=BB4_1437 Depth=1
	s_mov_b32 s22, 0
	s_cbranch_execz .LBB4_1450
	s_branch .LBB4_1451
.LBB4_1444:                             ;   in Loop: Header=BB4_1437 Depth=1
	s_waitcnt vmcnt(0)
	v_mov_b32_e32 v8, 0
	v_mov_b32_e32 v9, 0
	s_cmp_eq_u64 s[10:11], 0
	s_mov_b64 s[4:5], 0
	s_cbranch_scc1 .LBB4_1447
; %bb.1445:                             ;   in Loop: Header=BB4_1437 Depth=1
	v_mov_b32_e32 v8, 0
	v_mov_b32_e32 v9, 0
	s_lshl_b64 s[18:19], s[16:17], 3
	s_mov_b64 s[20:21], s[6:7]
.LBB4_1446:                             ;   Parent Loop BB4_1437 Depth=1
                                        ; =>  This Inner Loop Header: Depth=2
	global_load_ubyte v2, v3, s[20:21]
	s_waitcnt vmcnt(0)
	v_and_b32_e32 v2, 0xffff, v2
	v_lshlrev_b64 v[10:11], s4, v[2:3]
	s_add_u32 s4, s4, 8
	s_addc_u32 s5, s5, 0
	s_add_u32 s20, s20, 1
	s_addc_u32 s21, s21, 0
	s_cmp_lg_u32 s18, s4
	v_or_b32_e32 v8, v10, v8
	v_or_b32_e32 v9, v11, v9
	s_cbranch_scc1 .LBB4_1446
.LBB4_1447:                             ;   in Loop: Header=BB4_1437 Depth=1
	s_mov_b32 s15, 0
	s_mov_b64 s[4:5], s[6:7]
	s_cbranch_execnz .LBB4_1439
.LBB4_1448:                             ;   in Loop: Header=BB4_1437 Depth=1
	global_load_dwordx2 v[8:9], v3, s[6:7]
	s_add_i32 s15, s16, -8
	s_add_u32 s4, s6, 8
	s_addc_u32 s5, s7, 0
	s_cmp_gt_u32 s15, 7
	s_cbranch_scc0 .LBB4_1440
.LBB4_1449:                             ;   in Loop: Header=BB4_1437 Depth=1
                                        ; implicit-def: $vgpr10_vgpr11
                                        ; implicit-def: $sgpr22
.LBB4_1450:                             ;   in Loop: Header=BB4_1437 Depth=1
	global_load_dwordx2 v[10:11], v3, s[4:5]
	s_add_i32 s22, s15, -8
	s_add_u32 s4, s4, 8
	s_addc_u32 s5, s5, 0
.LBB4_1451:                             ;   in Loop: Header=BB4_1437 Depth=1
	s_cmp_gt_u32 s22, 7
	s_cbranch_scc1 .LBB4_1456
; %bb.1452:                             ;   in Loop: Header=BB4_1437 Depth=1
	v_mov_b32_e32 v12, 0
	v_mov_b32_e32 v13, 0
	s_cmp_eq_u32 s22, 0
	s_cbranch_scc1 .LBB4_1455
; %bb.1453:                             ;   in Loop: Header=BB4_1437 Depth=1
	s_mov_b64 s[18:19], 0
	s_mov_b64 s[20:21], 0
.LBB4_1454:                             ;   Parent Loop BB4_1437 Depth=1
                                        ; =>  This Inner Loop Header: Depth=2
	s_add_u32 s24, s4, s20
	s_addc_u32 s25, s5, s21
	s_add_u32 s20, s20, 1
	global_load_ubyte v2, v3, s[24:25]
	s_addc_u32 s21, s21, 0
	s_waitcnt vmcnt(0)
	v_and_b32_e32 v2, 0xffff, v2
	v_lshlrev_b64 v[14:15], s18, v[2:3]
	s_add_u32 s18, s18, 8
	s_addc_u32 s19, s19, 0
	s_cmp_lg_u32 s22, s20
	v_or_b32_e32 v12, v14, v12
	v_or_b32_e32 v13, v15, v13
	s_cbranch_scc1 .LBB4_1454
.LBB4_1455:                             ;   in Loop: Header=BB4_1437 Depth=1
	s_mov_b32 s15, 0
	s_cbranch_execz .LBB4_1457
	s_branch .LBB4_1458
.LBB4_1456:                             ;   in Loop: Header=BB4_1437 Depth=1
                                        ; implicit-def: $sgpr15
.LBB4_1457:                             ;   in Loop: Header=BB4_1437 Depth=1
	global_load_dwordx2 v[12:13], v3, s[4:5]
	s_add_i32 s15, s22, -8
	s_add_u32 s4, s4, 8
	s_addc_u32 s5, s5, 0
.LBB4_1458:                             ;   in Loop: Header=BB4_1437 Depth=1
	s_cmp_gt_u32 s15, 7
	s_cbranch_scc1 .LBB4_1463
; %bb.1459:                             ;   in Loop: Header=BB4_1437 Depth=1
	v_mov_b32_e32 v14, 0
	v_mov_b32_e32 v15, 0
	s_cmp_eq_u32 s15, 0
	s_cbranch_scc1 .LBB4_1462
; %bb.1460:                             ;   in Loop: Header=BB4_1437 Depth=1
	s_mov_b64 s[18:19], 0
	s_mov_b64 s[20:21], 0
.LBB4_1461:                             ;   Parent Loop BB4_1437 Depth=1
                                        ; =>  This Inner Loop Header: Depth=2
	s_add_u32 s22, s4, s20
	s_addc_u32 s23, s5, s21
	s_add_u32 s20, s20, 1
	global_load_ubyte v2, v3, s[22:23]
	s_addc_u32 s21, s21, 0
	s_waitcnt vmcnt(0)
	v_and_b32_e32 v2, 0xffff, v2
	v_lshlrev_b64 v[16:17], s18, v[2:3]
	s_add_u32 s18, s18, 8
	s_addc_u32 s19, s19, 0
	s_cmp_lg_u32 s15, s20
	v_or_b32_e32 v14, v16, v14
	v_or_b32_e32 v15, v17, v15
	s_cbranch_scc1 .LBB4_1461
.LBB4_1462:                             ;   in Loop: Header=BB4_1437 Depth=1
	s_mov_b32 s22, 0
	s_cbranch_execz .LBB4_1464
	s_branch .LBB4_1465
.LBB4_1463:                             ;   in Loop: Header=BB4_1437 Depth=1
                                        ; implicit-def: $vgpr14_vgpr15
                                        ; implicit-def: $sgpr22
.LBB4_1464:                             ;   in Loop: Header=BB4_1437 Depth=1
	global_load_dwordx2 v[14:15], v3, s[4:5]
	s_add_i32 s22, s15, -8
	s_add_u32 s4, s4, 8
	s_addc_u32 s5, s5, 0
.LBB4_1465:                             ;   in Loop: Header=BB4_1437 Depth=1
	s_cmp_gt_u32 s22, 7
	s_cbranch_scc1 .LBB4_1470
; %bb.1466:                             ;   in Loop: Header=BB4_1437 Depth=1
	v_mov_b32_e32 v16, 0
	v_mov_b32_e32 v17, 0
	s_cmp_eq_u32 s22, 0
	s_cbranch_scc1 .LBB4_1469
; %bb.1467:                             ;   in Loop: Header=BB4_1437 Depth=1
	s_mov_b64 s[18:19], 0
	s_mov_b64 s[20:21], 0
.LBB4_1468:                             ;   Parent Loop BB4_1437 Depth=1
                                        ; =>  This Inner Loop Header: Depth=2
	s_add_u32 s24, s4, s20
	s_addc_u32 s25, s5, s21
	s_add_u32 s20, s20, 1
	global_load_ubyte v2, v3, s[24:25]
	s_addc_u32 s21, s21, 0
	s_waitcnt vmcnt(0)
	v_and_b32_e32 v2, 0xffff, v2
	v_lshlrev_b64 v[18:19], s18, v[2:3]
	s_add_u32 s18, s18, 8
	s_addc_u32 s19, s19, 0
	s_cmp_lg_u32 s22, s20
	v_or_b32_e32 v16, v18, v16
	v_or_b32_e32 v17, v19, v17
	s_cbranch_scc1 .LBB4_1468
.LBB4_1469:                             ;   in Loop: Header=BB4_1437 Depth=1
	s_mov_b32 s15, 0
	s_cbranch_execz .LBB4_1471
	s_branch .LBB4_1472
.LBB4_1470:                             ;   in Loop: Header=BB4_1437 Depth=1
                                        ; implicit-def: $sgpr15
.LBB4_1471:                             ;   in Loop: Header=BB4_1437 Depth=1
	global_load_dwordx2 v[16:17], v3, s[4:5]
	s_add_i32 s15, s22, -8
	s_add_u32 s4, s4, 8
	s_addc_u32 s5, s5, 0
.LBB4_1472:                             ;   in Loop: Header=BB4_1437 Depth=1
	s_cmp_gt_u32 s15, 7
	s_cbranch_scc1 .LBB4_1477
; %bb.1473:                             ;   in Loop: Header=BB4_1437 Depth=1
	v_mov_b32_e32 v18, 0
	v_mov_b32_e32 v19, 0
	s_cmp_eq_u32 s15, 0
	s_cbranch_scc1 .LBB4_1476
; %bb.1474:                             ;   in Loop: Header=BB4_1437 Depth=1
	s_mov_b64 s[18:19], 0
	s_mov_b64 s[20:21], 0
.LBB4_1475:                             ;   Parent Loop BB4_1437 Depth=1
                                        ; =>  This Inner Loop Header: Depth=2
	s_add_u32 s22, s4, s20
	s_addc_u32 s23, s5, s21
	s_add_u32 s20, s20, 1
	global_load_ubyte v2, v3, s[22:23]
	s_addc_u32 s21, s21, 0
	s_waitcnt vmcnt(0)
	v_and_b32_e32 v2, 0xffff, v2
	v_lshlrev_b64 v[20:21], s18, v[2:3]
	s_add_u32 s18, s18, 8
	s_addc_u32 s19, s19, 0
	s_cmp_lg_u32 s15, s20
	v_or_b32_e32 v18, v20, v18
	v_or_b32_e32 v19, v21, v19
	s_cbranch_scc1 .LBB4_1475
.LBB4_1476:                             ;   in Loop: Header=BB4_1437 Depth=1
	s_mov_b32 s22, 0
	s_cbranch_execz .LBB4_1478
	s_branch .LBB4_1479
.LBB4_1477:                             ;   in Loop: Header=BB4_1437 Depth=1
                                        ; implicit-def: $vgpr18_vgpr19
                                        ; implicit-def: $sgpr22
.LBB4_1478:                             ;   in Loop: Header=BB4_1437 Depth=1
	global_load_dwordx2 v[18:19], v3, s[4:5]
	s_add_i32 s22, s15, -8
	s_add_u32 s4, s4, 8
	s_addc_u32 s5, s5, 0
.LBB4_1479:                             ;   in Loop: Header=BB4_1437 Depth=1
	s_cmp_gt_u32 s22, 7
	s_cbranch_scc1 .LBB4_1484
; %bb.1480:                             ;   in Loop: Header=BB4_1437 Depth=1
	v_mov_b32_e32 v20, 0
	v_mov_b32_e32 v21, 0
	s_cmp_eq_u32 s22, 0
	s_cbranch_scc1 .LBB4_1483
; %bb.1481:                             ;   in Loop: Header=BB4_1437 Depth=1
	s_mov_b64 s[18:19], 0
	s_mov_b64 s[20:21], s[4:5]
.LBB4_1482:                             ;   Parent Loop BB4_1437 Depth=1
                                        ; =>  This Inner Loop Header: Depth=2
	global_load_ubyte v2, v3, s[20:21]
	s_add_i32 s22, s22, -1
	s_waitcnt vmcnt(0)
	v_and_b32_e32 v2, 0xffff, v2
	v_lshlrev_b64 v[22:23], s18, v[2:3]
	s_add_u32 s18, s18, 8
	s_addc_u32 s19, s19, 0
	s_add_u32 s20, s20, 1
	s_addc_u32 s21, s21, 0
	s_cmp_lg_u32 s22, 0
	v_or_b32_e32 v20, v22, v20
	v_or_b32_e32 v21, v23, v21
	s_cbranch_scc1 .LBB4_1482
.LBB4_1483:                             ;   in Loop: Header=BB4_1437 Depth=1
	s_cbranch_execz .LBB4_1485
	s_branch .LBB4_1486
.LBB4_1484:                             ;   in Loop: Header=BB4_1437 Depth=1
.LBB4_1485:                             ;   in Loop: Header=BB4_1437 Depth=1
	global_load_dwordx2 v[20:21], v3, s[4:5]
.LBB4_1486:                             ;   in Loop: Header=BB4_1437 Depth=1
	v_readfirstlane_b32 s4, v50
	v_mov_b32_e32 v26, 0
	v_mov_b32_e32 v27, 0
	v_cmp_eq_u32_e64 s4, s4, v50
	s_and_saveexec_b32 s5, s4
	s_cbranch_execz .LBB4_1492
; %bb.1487:                             ;   in Loop: Header=BB4_1437 Depth=1
	global_load_dwordx2 v[24:25], v3, s[26:27] offset:24 glc dlc
	s_waitcnt vmcnt(0)
	buffer_gl1_inv
	buffer_gl0_inv
	s_clause 0x1
	global_load_dwordx2 v[22:23], v3, s[26:27] offset:40
	global_load_dwordx2 v[26:27], v3, s[26:27]
	s_mov_b32 s15, exec_lo
	s_waitcnt vmcnt(1)
	v_and_b32_e32 v2, v23, v25
	v_and_b32_e32 v22, v22, v24
	v_mul_lo_u32 v2, v2, 24
	v_mul_hi_u32 v23, v22, 24
	v_mul_lo_u32 v22, v22, 24
	v_add_nc_u32_e32 v2, v23, v2
	s_waitcnt vmcnt(0)
	v_add_co_u32 v22, vcc_lo, v26, v22
	v_add_co_ci_u32_e32 v23, vcc_lo, v27, v2, vcc_lo
	global_load_dwordx2 v[22:23], v[22:23], off glc dlc
	s_waitcnt vmcnt(0)
	global_atomic_cmpswap_x2 v[26:27], v3, v[22:25], s[26:27] offset:24 glc
	s_waitcnt vmcnt(0)
	buffer_gl1_inv
	buffer_gl0_inv
	v_cmpx_ne_u64_e64 v[26:27], v[24:25]
	s_cbranch_execz .LBB4_1491
; %bb.1488:                             ;   in Loop: Header=BB4_1437 Depth=1
	s_mov_b32 s18, 0
	.p2align	6
.LBB4_1489:                             ;   Parent Loop BB4_1437 Depth=1
                                        ; =>  This Inner Loop Header: Depth=2
	s_sleep 1
	s_clause 0x1
	global_load_dwordx2 v[22:23], v3, s[26:27] offset:40
	global_load_dwordx2 v[28:29], v3, s[26:27]
	v_mov_b32_e32 v24, v26
	v_mov_b32_e32 v25, v27
	s_waitcnt vmcnt(1)
	v_and_b32_e32 v2, v22, v24
	v_and_b32_e32 v22, v23, v25
	s_waitcnt vmcnt(0)
	v_mad_u64_u32 v[26:27], null, v2, 24, v[28:29]
	v_mov_b32_e32 v2, v27
	v_mad_u64_u32 v[22:23], null, v22, 24, v[2:3]
	v_mov_b32_e32 v27, v22
	global_load_dwordx2 v[22:23], v[26:27], off glc dlc
	s_waitcnt vmcnt(0)
	global_atomic_cmpswap_x2 v[26:27], v3, v[22:25], s[26:27] offset:24 glc
	s_waitcnt vmcnt(0)
	buffer_gl1_inv
	buffer_gl0_inv
	v_cmp_eq_u64_e32 vcc_lo, v[26:27], v[24:25]
	s_or_b32 s18, vcc_lo, s18
	s_andn2_b32 exec_lo, exec_lo, s18
	s_cbranch_execnz .LBB4_1489
; %bb.1490:                             ;   in Loop: Header=BB4_1437 Depth=1
	s_or_b32 exec_lo, exec_lo, s18
.LBB4_1491:                             ;   in Loop: Header=BB4_1437 Depth=1
	s_or_b32 exec_lo, exec_lo, s15
.LBB4_1492:                             ;   in Loop: Header=BB4_1437 Depth=1
	s_or_b32 exec_lo, exec_lo, s5
	s_clause 0x1
	global_load_dwordx2 v[28:29], v3, s[26:27] offset:40
	global_load_dwordx4 v[22:25], v3, s[26:27]
	v_readfirstlane_b32 s18, v26
	v_readfirstlane_b32 s19, v27
	s_mov_b32 s5, exec_lo
	s_waitcnt vmcnt(1)
	v_readfirstlane_b32 s20, v28
	v_readfirstlane_b32 s21, v29
	s_and_b64 s[20:21], s[18:19], s[20:21]
	s_mul_i32 s15, s21, 24
	s_mul_hi_u32 s22, s20, 24
	s_mul_i32 s23, s20, 24
	s_add_i32 s22, s22, s15
	s_waitcnt vmcnt(0)
	v_add_co_u32 v26, vcc_lo, v22, s23
	v_add_co_ci_u32_e32 v27, vcc_lo, s22, v23, vcc_lo
	s_and_saveexec_b32 s15, s4
	s_cbranch_execz .LBB4_1494
; %bb.1493:                             ;   in Loop: Header=BB4_1437 Depth=1
	v_mov_b32_e32 v2, s5
	global_store_dwordx4 v[26:27], v[2:5], off offset:8
.LBB4_1494:                             ;   in Loop: Header=BB4_1437 Depth=1
	s_or_b32 exec_lo, exec_lo, s15
	s_lshl_b64 s[20:21], s[20:21], 12
	v_or_b32_e32 v2, 2, v6
	v_add_co_u32 v24, vcc_lo, v24, s20
	v_add_co_ci_u32_e32 v25, vcc_lo, s21, v25, vcc_lo
	v_cmp_gt_u64_e64 vcc_lo, s[10:11], 56
	s_lshl_b32 s5, s16, 2
	v_readfirstlane_b32 s20, v24
	s_add_i32 s5, s5, 28
	v_readfirstlane_b32 s21, v25
	s_and_b32 s5, s5, 0x1e0
	v_cndmask_b32_e32 v2, v2, v6, vcc_lo
	v_and_or_b32 v6, 0xffffff1f, v2, s5
	global_store_dwordx4 v39, v[10:13], s[20:21] offset:16
	global_store_dwordx4 v39, v[6:9], s[20:21]
	global_store_dwordx4 v39, v[14:17], s[20:21] offset:32
	global_store_dwordx4 v39, v[18:21], s[20:21] offset:48
	s_and_saveexec_b32 s5, s4
	s_cbranch_execz .LBB4_1502
; %bb.1495:                             ;   in Loop: Header=BB4_1437 Depth=1
	s_clause 0x1
	global_load_dwordx2 v[14:15], v3, s[26:27] offset:32 glc dlc
	global_load_dwordx2 v[6:7], v3, s[26:27] offset:40
	v_mov_b32_e32 v12, s18
	v_mov_b32_e32 v13, s19
	s_waitcnt vmcnt(0)
	v_readfirstlane_b32 s20, v6
	v_readfirstlane_b32 s21, v7
	s_and_b64 s[20:21], s[20:21], s[18:19]
	s_mul_i32 s15, s21, 24
	s_mul_hi_u32 s21, s20, 24
	s_mul_i32 s20, s20, 24
	s_add_i32 s21, s21, s15
	v_add_co_u32 v10, vcc_lo, v22, s20
	v_add_co_ci_u32_e32 v11, vcc_lo, s21, v23, vcc_lo
	s_mov_b32 s15, exec_lo
	global_store_dwordx2 v[10:11], v[14:15], off
	s_waitcnt_vscnt null, 0x0
	global_atomic_cmpswap_x2 v[8:9], v3, v[12:15], s[26:27] offset:32 glc
	s_waitcnt vmcnt(0)
	v_cmpx_ne_u64_e64 v[8:9], v[14:15]
	s_cbranch_execz .LBB4_1498
; %bb.1496:                             ;   in Loop: Header=BB4_1437 Depth=1
	s_mov_b32 s20, 0
.LBB4_1497:                             ;   Parent Loop BB4_1437 Depth=1
                                        ; =>  This Inner Loop Header: Depth=2
	v_mov_b32_e32 v6, s18
	v_mov_b32_e32 v7, s19
	s_sleep 1
	global_store_dwordx2 v[10:11], v[8:9], off
	s_waitcnt_vscnt null, 0x0
	global_atomic_cmpswap_x2 v[6:7], v3, v[6:9], s[26:27] offset:32 glc
	s_waitcnt vmcnt(0)
	v_cmp_eq_u64_e32 vcc_lo, v[6:7], v[8:9]
	v_mov_b32_e32 v9, v7
	v_mov_b32_e32 v8, v6
	s_or_b32 s20, vcc_lo, s20
	s_andn2_b32 exec_lo, exec_lo, s20
	s_cbranch_execnz .LBB4_1497
.LBB4_1498:                             ;   in Loop: Header=BB4_1437 Depth=1
	s_or_b32 exec_lo, exec_lo, s15
	global_load_dwordx2 v[6:7], v3, s[26:27] offset:16
	s_mov_b32 s20, exec_lo
	s_mov_b32 s15, exec_lo
	v_mbcnt_lo_u32_b32 v2, s20, 0
	v_cmpx_eq_u32_e32 0, v2
	s_cbranch_execz .LBB4_1500
; %bb.1499:                             ;   in Loop: Header=BB4_1437 Depth=1
	s_bcnt1_i32_b32 s20, s20
	v_mov_b32_e32 v2, s20
	s_waitcnt vmcnt(0)
	global_atomic_add_x2 v[6:7], v[2:3], off offset:8
.LBB4_1500:                             ;   in Loop: Header=BB4_1437 Depth=1
	s_or_b32 exec_lo, exec_lo, s15
	s_waitcnt vmcnt(0)
	global_load_dwordx2 v[8:9], v[6:7], off offset:16
	s_waitcnt vmcnt(0)
	v_cmp_eq_u64_e32 vcc_lo, 0, v[8:9]
	s_cbranch_vccnz .LBB4_1502
; %bb.1501:                             ;   in Loop: Header=BB4_1437 Depth=1
	global_load_dword v2, v[6:7], off offset:24
	s_waitcnt vmcnt(0)
	v_and_b32_e32 v6, 0x7fffff, v2
	s_waitcnt_vscnt null, 0x0
	global_store_dwordx2 v[8:9], v[2:3], off
	v_readfirstlane_b32 m0, v6
	s_sendmsg sendmsg(MSG_INTERRUPT)
.LBB4_1502:                             ;   in Loop: Header=BB4_1437 Depth=1
	s_or_b32 exec_lo, exec_lo, s5
	v_add_co_u32 v6, vcc_lo, v24, v39
	v_add_co_ci_u32_e32 v7, vcc_lo, 0, v25, vcc_lo
	s_branch .LBB4_1506
	.p2align	6
.LBB4_1503:                             ;   in Loop: Header=BB4_1506 Depth=2
	s_or_b32 exec_lo, exec_lo, s5
	v_readfirstlane_b32 s5, v2
	s_cmp_eq_u32 s5, 0
	s_cbranch_scc1 .LBB4_1505
; %bb.1504:                             ;   in Loop: Header=BB4_1506 Depth=2
	s_sleep 1
	s_cbranch_execnz .LBB4_1506
	s_branch .LBB4_1508
	.p2align	6
.LBB4_1505:                             ;   in Loop: Header=BB4_1437 Depth=1
	s_branch .LBB4_1508
.LBB4_1506:                             ;   Parent Loop BB4_1437 Depth=1
                                        ; =>  This Inner Loop Header: Depth=2
	v_mov_b32_e32 v2, 1
	s_and_saveexec_b32 s5, s4
	s_cbranch_execz .LBB4_1503
; %bb.1507:                             ;   in Loop: Header=BB4_1506 Depth=2
	global_load_dword v2, v[26:27], off offset:20 glc dlc
	s_waitcnt vmcnt(0)
	buffer_gl1_inv
	buffer_gl0_inv
	v_and_b32_e32 v2, 1, v2
	s_branch .LBB4_1503
.LBB4_1508:                             ;   in Loop: Header=BB4_1437 Depth=1
	global_load_dwordx4 v[6:9], v[6:7], off
	s_and_saveexec_b32 s5, s4
	s_cbranch_execz .LBB4_1436
; %bb.1509:                             ;   in Loop: Header=BB4_1437 Depth=1
	s_clause 0x2
	global_load_dwordx2 v[10:11], v3, s[26:27] offset:40
	global_load_dwordx2 v[14:15], v3, s[26:27] offset:24 glc dlc
	global_load_dwordx2 v[12:13], v3, s[26:27]
	s_waitcnt vmcnt(2)
	v_add_co_u32 v2, vcc_lo, v10, 1
	v_add_co_ci_u32_e32 v16, vcc_lo, 0, v11, vcc_lo
	v_add_co_u32 v8, vcc_lo, v2, s18
	v_add_co_ci_u32_e32 v9, vcc_lo, s19, v16, vcc_lo
	v_cmp_eq_u64_e32 vcc_lo, 0, v[8:9]
	v_cndmask_b32_e32 v9, v9, v16, vcc_lo
	v_cndmask_b32_e32 v8, v8, v2, vcc_lo
	v_and_b32_e32 v2, v9, v11
	v_and_b32_e32 v10, v8, v10
	v_mul_lo_u32 v2, v2, 24
	v_mul_hi_u32 v11, v10, 24
	v_mul_lo_u32 v10, v10, 24
	v_add_nc_u32_e32 v2, v11, v2
	s_waitcnt vmcnt(0)
	v_add_co_u32 v12, vcc_lo, v12, v10
	v_mov_b32_e32 v10, v14
	v_mov_b32_e32 v11, v15
	v_add_co_ci_u32_e32 v13, vcc_lo, v13, v2, vcc_lo
	global_store_dwordx2 v[12:13], v[14:15], off
	s_waitcnt_vscnt null, 0x0
	global_atomic_cmpswap_x2 v[10:11], v3, v[8:11], s[26:27] offset:24 glc
	s_waitcnt vmcnt(0)
	v_cmp_ne_u64_e32 vcc_lo, v[10:11], v[14:15]
	s_and_b32 exec_lo, exec_lo, vcc_lo
	s_cbranch_execz .LBB4_1436
; %bb.1510:                             ;   in Loop: Header=BB4_1437 Depth=1
	s_mov_b32 s4, 0
.LBB4_1511:                             ;   Parent Loop BB4_1437 Depth=1
                                        ; =>  This Inner Loop Header: Depth=2
	s_sleep 1
	global_store_dwordx2 v[12:13], v[10:11], off
	s_waitcnt_vscnt null, 0x0
	global_atomic_cmpswap_x2 v[14:15], v3, v[8:11], s[26:27] offset:24 glc
	s_waitcnt vmcnt(0)
	v_cmp_eq_u64_e32 vcc_lo, v[14:15], v[10:11]
	v_mov_b32_e32 v10, v14
	v_mov_b32_e32 v11, v15
	s_or_b32 s4, vcc_lo, s4
	s_andn2_b32 exec_lo, exec_lo, s4
	s_cbranch_execnz .LBB4_1511
	s_branch .LBB4_1436
.LBB4_1512:
	s_mov_b32 s4, 0
	s_branch .LBB4_1514
.LBB4_1513:
	s_mov_b32 s4, -1
.LBB4_1514:
	s_mov_b32 s36, s12
	s_mov_b32 s37, s13
	;; [unrolled: 1-line block ×3, first 2 shown]
	s_and_b32 vcc_lo, exec_lo, s4
	s_cbranch_vccz .LBB4_1542
; %bb.1515:
	v_readfirstlane_b32 s4, v50
	s_waitcnt vmcnt(0)
	v_mov_b32_e32 v8, 0
	v_mov_b32_e32 v9, 0
	v_cmp_eq_u32_e64 s4, s4, v50
	s_and_saveexec_b32 s5, s4
	s_cbranch_execz .LBB4_1521
; %bb.1516:
	v_mov_b32_e32 v2, 0
	s_mov_b32 s6, exec_lo
	global_load_dwordx2 v[5:6], v2, s[26:27] offset:24 glc dlc
	s_waitcnt vmcnt(0)
	buffer_gl1_inv
	buffer_gl0_inv
	s_clause 0x1
	global_load_dwordx2 v[3:4], v2, s[26:27] offset:40
	global_load_dwordx2 v[7:8], v2, s[26:27]
	s_waitcnt vmcnt(1)
	v_and_b32_e32 v4, v4, v6
	v_and_b32_e32 v3, v3, v5
	v_mul_lo_u32 v4, v4, 24
	v_mul_hi_u32 v9, v3, 24
	v_mul_lo_u32 v3, v3, 24
	v_add_nc_u32_e32 v4, v9, v4
	s_waitcnt vmcnt(0)
	v_add_co_u32 v3, vcc_lo, v7, v3
	v_add_co_ci_u32_e32 v4, vcc_lo, v8, v4, vcc_lo
	global_load_dwordx2 v[3:4], v[3:4], off glc dlc
	s_waitcnt vmcnt(0)
	global_atomic_cmpswap_x2 v[8:9], v2, v[3:6], s[26:27] offset:24 glc
	s_waitcnt vmcnt(0)
	buffer_gl1_inv
	buffer_gl0_inv
	v_cmpx_ne_u64_e64 v[8:9], v[5:6]
	s_cbranch_execz .LBB4_1520
; %bb.1517:
	s_mov_b32 s7, 0
	.p2align	6
.LBB4_1518:                             ; =>This Inner Loop Header: Depth=1
	s_sleep 1
	s_clause 0x1
	global_load_dwordx2 v[3:4], v2, s[26:27] offset:40
	global_load_dwordx2 v[10:11], v2, s[26:27]
	v_mov_b32_e32 v5, v8
	v_mov_b32_e32 v6, v9
	s_waitcnt vmcnt(1)
	v_and_b32_e32 v3, v3, v5
	v_and_b32_e32 v4, v4, v6
	s_waitcnt vmcnt(0)
	v_mad_u64_u32 v[7:8], null, v3, 24, v[10:11]
	v_mov_b32_e32 v3, v8
	v_mad_u64_u32 v[3:4], null, v4, 24, v[3:4]
	v_mov_b32_e32 v8, v3
	global_load_dwordx2 v[3:4], v[7:8], off glc dlc
	s_waitcnt vmcnt(0)
	global_atomic_cmpswap_x2 v[8:9], v2, v[3:6], s[26:27] offset:24 glc
	s_waitcnt vmcnt(0)
	buffer_gl1_inv
	buffer_gl0_inv
	v_cmp_eq_u64_e32 vcc_lo, v[8:9], v[5:6]
	s_or_b32 s7, vcc_lo, s7
	s_andn2_b32 exec_lo, exec_lo, s7
	s_cbranch_execnz .LBB4_1518
; %bb.1519:
	s_or_b32 exec_lo, exec_lo, s7
.LBB4_1520:
	s_or_b32 exec_lo, exec_lo, s6
.LBB4_1521:
	s_or_b32 exec_lo, exec_lo, s5
	v_mov_b32_e32 v2, 0
	v_readfirstlane_b32 s6, v8
	v_readfirstlane_b32 s7, v9
	s_mov_b32 s5, exec_lo
	s_clause 0x1
	global_load_dwordx2 v[10:11], v2, s[26:27] offset:40
	global_load_dwordx4 v[4:7], v2, s[26:27]
	s_waitcnt vmcnt(1)
	v_readfirstlane_b32 s10, v10
	v_readfirstlane_b32 s11, v11
	s_and_b64 s[10:11], s[6:7], s[10:11]
	s_mul_i32 s12, s11, 24
	s_mul_hi_u32 s13, s10, 24
	s_mul_i32 s14, s10, 24
	s_add_i32 s13, s13, s12
	s_waitcnt vmcnt(0)
	v_add_co_u32 v8, vcc_lo, v4, s14
	v_add_co_ci_u32_e32 v9, vcc_lo, s13, v5, vcc_lo
	s_and_saveexec_b32 s12, s4
	s_cbranch_execz .LBB4_1523
; %bb.1522:
	v_mov_b32_e32 v10, s5
	v_mov_b32_e32 v11, v2
	;; [unrolled: 1-line block ×4, first 2 shown]
	global_store_dwordx4 v[8:9], v[10:13], off offset:8
.LBB4_1523:
	s_or_b32 exec_lo, exec_lo, s12
	s_lshl_b64 s[10:11], s[10:11], 12
	s_mov_b32 s12, 0
	v_add_co_u32 v6, vcc_lo, v6, s10
	v_add_co_ci_u32_e32 v7, vcc_lo, s11, v7, vcc_lo
	s_mov_b32 s13, s12
	s_mov_b32 s14, s12
	;; [unrolled: 1-line block ×3, first 2 shown]
	v_and_or_b32 v0, 0xffffff1d, v0, 34
	v_mov_b32_e32 v3, v2
	v_readfirstlane_b32 s10, v6
	v_readfirstlane_b32 s11, v7
	v_mov_b32_e32 v10, s12
	v_mov_b32_e32 v11, s13
	v_mov_b32_e32 v12, s14
	v_mov_b32_e32 v13, s15
	global_store_dwordx4 v39, v[0:3], s[10:11]
	global_store_dwordx4 v39, v[10:13], s[10:11] offset:16
	global_store_dwordx4 v39, v[10:13], s[10:11] offset:32
	;; [unrolled: 1-line block ×3, first 2 shown]
	s_and_saveexec_b32 s5, s4
	s_cbranch_execz .LBB4_1531
; %bb.1524:
	v_mov_b32_e32 v6, 0
	v_mov_b32_e32 v10, s6
	;; [unrolled: 1-line block ×3, first 2 shown]
	s_clause 0x1
	global_load_dwordx2 v[12:13], v6, s[26:27] offset:32 glc dlc
	global_load_dwordx2 v[0:1], v6, s[26:27] offset:40
	s_waitcnt vmcnt(0)
	v_readfirstlane_b32 s10, v0
	v_readfirstlane_b32 s11, v1
	s_and_b64 s[10:11], s[10:11], s[6:7]
	s_mul_i32 s11, s11, 24
	s_mul_hi_u32 s12, s10, 24
	s_mul_i32 s10, s10, 24
	s_add_i32 s12, s12, s11
	v_add_co_u32 v4, vcc_lo, v4, s10
	v_add_co_ci_u32_e32 v5, vcc_lo, s12, v5, vcc_lo
	s_mov_b32 s10, exec_lo
	global_store_dwordx2 v[4:5], v[12:13], off
	s_waitcnt_vscnt null, 0x0
	global_atomic_cmpswap_x2 v[2:3], v6, v[10:13], s[26:27] offset:32 glc
	s_waitcnt vmcnt(0)
	v_cmpx_ne_u64_e64 v[2:3], v[12:13]
	s_cbranch_execz .LBB4_1527
; %bb.1525:
	s_mov_b32 s11, 0
.LBB4_1526:                             ; =>This Inner Loop Header: Depth=1
	v_mov_b32_e32 v0, s6
	v_mov_b32_e32 v1, s7
	s_sleep 1
	global_store_dwordx2 v[4:5], v[2:3], off
	s_waitcnt_vscnt null, 0x0
	global_atomic_cmpswap_x2 v[0:1], v6, v[0:3], s[26:27] offset:32 glc
	s_waitcnt vmcnt(0)
	v_cmp_eq_u64_e32 vcc_lo, v[0:1], v[2:3]
	v_mov_b32_e32 v3, v1
	v_mov_b32_e32 v2, v0
	s_or_b32 s11, vcc_lo, s11
	s_andn2_b32 exec_lo, exec_lo, s11
	s_cbranch_execnz .LBB4_1526
.LBB4_1527:
	s_or_b32 exec_lo, exec_lo, s10
	v_mov_b32_e32 v3, 0
	s_mov_b32 s11, exec_lo
	s_mov_b32 s10, exec_lo
	v_mbcnt_lo_u32_b32 v2, s11, 0
	global_load_dwordx2 v[0:1], v3, s[26:27] offset:16
	v_cmpx_eq_u32_e32 0, v2
	s_cbranch_execz .LBB4_1529
; %bb.1528:
	s_bcnt1_i32_b32 s11, s11
	v_mov_b32_e32 v2, s11
	s_waitcnt vmcnt(0)
	global_atomic_add_x2 v[0:1], v[2:3], off offset:8
.LBB4_1529:
	s_or_b32 exec_lo, exec_lo, s10
	s_waitcnt vmcnt(0)
	global_load_dwordx2 v[2:3], v[0:1], off offset:16
	s_waitcnt vmcnt(0)
	v_cmp_eq_u64_e32 vcc_lo, 0, v[2:3]
	s_cbranch_vccnz .LBB4_1531
; %bb.1530:
	global_load_dword v0, v[0:1], off offset:24
	v_mov_b32_e32 v1, 0
	s_waitcnt vmcnt(0)
	v_and_b32_e32 v4, 0x7fffff, v0
	s_waitcnt_vscnt null, 0x0
	global_store_dwordx2 v[2:3], v[0:1], off
	v_readfirstlane_b32 m0, v4
	s_sendmsg sendmsg(MSG_INTERRUPT)
.LBB4_1531:
	s_or_b32 exec_lo, exec_lo, s5
	s_branch .LBB4_1535
	.p2align	6
.LBB4_1532:                             ;   in Loop: Header=BB4_1535 Depth=1
	s_or_b32 exec_lo, exec_lo, s5
	v_readfirstlane_b32 s5, v0
	s_cmp_eq_u32 s5, 0
	s_cbranch_scc1 .LBB4_1534
; %bb.1533:                             ;   in Loop: Header=BB4_1535 Depth=1
	s_sleep 1
	s_cbranch_execnz .LBB4_1535
	s_branch .LBB4_1537
	.p2align	6
.LBB4_1534:
	s_branch .LBB4_1537
.LBB4_1535:                             ; =>This Inner Loop Header: Depth=1
	v_mov_b32_e32 v0, 1
	s_and_saveexec_b32 s5, s4
	s_cbranch_execz .LBB4_1532
; %bb.1536:                             ;   in Loop: Header=BB4_1535 Depth=1
	global_load_dword v0, v[8:9], off offset:20 glc dlc
	s_waitcnt vmcnt(0)
	buffer_gl1_inv
	buffer_gl0_inv
	v_and_b32_e32 v0, 1, v0
	s_branch .LBB4_1532
.LBB4_1537:
	s_and_saveexec_b32 s5, s4
	s_cbranch_execz .LBB4_1541
; %bb.1538:
	v_mov_b32_e32 v6, 0
	s_clause 0x2
	global_load_dwordx2 v[2:3], v6, s[26:27] offset:40
	global_load_dwordx2 v[7:8], v6, s[26:27] offset:24 glc dlc
	global_load_dwordx2 v[4:5], v6, s[26:27]
	s_waitcnt vmcnt(2)
	v_add_co_u32 v9, vcc_lo, v2, 1
	v_add_co_ci_u32_e32 v10, vcc_lo, 0, v3, vcc_lo
	v_add_co_u32 v0, vcc_lo, v9, s6
	v_add_co_ci_u32_e32 v1, vcc_lo, s7, v10, vcc_lo
	v_cmp_eq_u64_e32 vcc_lo, 0, v[0:1]
	v_cndmask_b32_e32 v1, v1, v10, vcc_lo
	v_cndmask_b32_e32 v0, v0, v9, vcc_lo
	v_and_b32_e32 v3, v1, v3
	v_and_b32_e32 v2, v0, v2
	v_mul_lo_u32 v3, v3, 24
	v_mul_hi_u32 v9, v2, 24
	v_mul_lo_u32 v2, v2, 24
	v_add_nc_u32_e32 v3, v9, v3
	s_waitcnt vmcnt(0)
	v_add_co_u32 v4, vcc_lo, v4, v2
	v_mov_b32_e32 v2, v7
	v_add_co_ci_u32_e32 v5, vcc_lo, v5, v3, vcc_lo
	v_mov_b32_e32 v3, v8
	global_store_dwordx2 v[4:5], v[7:8], off
	s_waitcnt_vscnt null, 0x0
	global_atomic_cmpswap_x2 v[2:3], v6, v[0:3], s[26:27] offset:24 glc
	s_waitcnt vmcnt(0)
	v_cmp_ne_u64_e32 vcc_lo, v[2:3], v[7:8]
	s_and_b32 exec_lo, exec_lo, vcc_lo
	s_cbranch_execz .LBB4_1541
; %bb.1539:
	s_mov_b32 s4, 0
.LBB4_1540:                             ; =>This Inner Loop Header: Depth=1
	s_sleep 1
	global_store_dwordx2 v[4:5], v[2:3], off
	s_waitcnt_vscnt null, 0x0
	global_atomic_cmpswap_x2 v[7:8], v6, v[0:3], s[26:27] offset:24 glc
	s_waitcnt vmcnt(0)
	v_cmp_eq_u64_e32 vcc_lo, v[7:8], v[2:3]
	v_mov_b32_e32 v2, v7
	v_mov_b32_e32 v3, v8
	s_or_b32 s4, vcc_lo, s4
	s_andn2_b32 exec_lo, exec_lo, s4
	s_cbranch_execnz .LBB4_1540
.LBB4_1541:
	s_or_b32 exec_lo, exec_lo, s5
.LBB4_1542:
	s_getpc_b64 s[4:5]
	s_add_u32 s4, s4, .str.16@rel32@lo+4
	s_addc_u32 s5, s5, .str.16@rel32@hi+12
	s_waitcnt vmcnt(0)
	v_mov_b32_e32 v0, s4
	v_mov_b32_e32 v1, s5
	s_getpc_b64 s[40:41]
	s_add_u32 s40, s40, _ZNK8migraphx13basic_printerIZNS_4coutEvEUlT_E_ElsEPKc@rel32@lo+4
	s_addc_u32 s41, s41, _ZNK8migraphx13basic_printerIZNS_4coutEvEUlT_E_ElsEPKc@rel32@hi+12
	s_mov_b64 s[24:25], s[8:9]
	s_swappc_b64 s[30:31], s[40:41]
	s_getpc_b64 s[4:5]
	s_add_u32 s4, s4, .str.3@rel32@lo+4
	s_addc_u32 s5, s5, .str.3@rel32@hi+12
	v_mov_b32_e32 v0, s4
	v_mov_b32_e32 v1, s5
	s_mov_b64 s[8:9], s[24:25]
	s_swappc_b64 s[30:31], s[40:41]
	v_mov_b32_e32 v0, v48
	v_mov_b32_e32 v1, v49
	s_mov_b64 s[8:9], s[24:25]
	s_getpc_b64 s[42:43]
	s_add_u32 s42, s42, _ZN8migraphx4test12print_streamIKNS_13basic_printerIZNS_4coutEvEUlT_E_EEPiEEvRS3_RKT0_@rel32@lo+4
	s_addc_u32 s43, s43, _ZN8migraphx4test12print_streamIKNS_13basic_printerIZNS_4coutEvEUlT_E_EEPiEEvRS3_RKT0_@rel32@hi+12
	s_swappc_b64 s[30:31], s[42:43]
	s_getpc_b64 s[22:23]
	s_add_u32 s22, s22, .str.8@rel32@lo+4
	s_addc_u32 s23, s23, .str.8@rel32@hi+12
	v_mov_b32_e32 v0, s22
	v_mov_b32_e32 v1, s23
	s_mov_b64 s[8:9], s[24:25]
	s_swappc_b64 s[30:31], s[40:41]
	s_getpc_b64 s[4:5]
	s_add_u32 s4, s4, .str.10@rel32@lo+4
	s_addc_u32 s5, s5, .str.10@rel32@hi+12
	v_mov_b32_e32 v0, s4
	v_mov_b32_e32 v1, s5
	s_mov_b64 s[8:9], s[24:25]
	s_swappc_b64 s[30:31], s[40:41]
	v_mov_b32_e32 v0, s22
	v_mov_b32_e32 v1, s23
	s_mov_b64 s[8:9], s[24:25]
	s_swappc_b64 s[30:31], s[40:41]
	;; [unrolled: 4-line block ×3, first 2 shown]
	s_getpc_b64 s[4:5]
	s_add_u32 s4, s4, .str.4@rel32@lo+4
	s_addc_u32 s5, s5, .str.4@rel32@hi+12
	v_mov_b32_e32 v0, s4
	v_mov_b32_e32 v1, s5
	s_mov_b64 s[8:9], s[24:25]
	s_mov_b64 s[22:23], s[24:25]
	s_swappc_b64 s[30:31], s[40:41]
	v_readfirstlane_b32 s4, v50
	v_mov_b32_e32 v6, 0
	v_mov_b32_e32 v7, 0
	v_cmp_eq_u32_e64 s4, s4, v50
	s_and_saveexec_b32 s5, s4
	s_mov_b32 s14, s38
	s_mov_b32 s13, s37
	;; [unrolled: 1-line block ×3, first 2 shown]
	s_cbranch_execz .LBB4_1548
; %bb.1543:
	v_mov_b32_e32 v0, 0
	s_mov_b32 s6, exec_lo
	global_load_dwordx2 v[3:4], v0, s[26:27] offset:24 glc dlc
	s_waitcnt vmcnt(0)
	buffer_gl1_inv
	buffer_gl0_inv
	s_clause 0x1
	global_load_dwordx2 v[1:2], v0, s[26:27] offset:40
	global_load_dwordx2 v[5:6], v0, s[26:27]
	s_waitcnt vmcnt(1)
	v_and_b32_e32 v2, v2, v4
	v_and_b32_e32 v1, v1, v3
	v_mul_lo_u32 v2, v2, 24
	v_mul_hi_u32 v7, v1, 24
	v_mul_lo_u32 v1, v1, 24
	v_add_nc_u32_e32 v2, v7, v2
	s_waitcnt vmcnt(0)
	v_add_co_u32 v1, vcc_lo, v5, v1
	v_add_co_ci_u32_e32 v2, vcc_lo, v6, v2, vcc_lo
	global_load_dwordx2 v[1:2], v[1:2], off glc dlc
	s_waitcnt vmcnt(0)
	global_atomic_cmpswap_x2 v[6:7], v0, v[1:4], s[26:27] offset:24 glc
	s_waitcnt vmcnt(0)
	buffer_gl1_inv
	buffer_gl0_inv
	v_cmpx_ne_u64_e64 v[6:7], v[3:4]
	s_cbranch_execz .LBB4_1547
; %bb.1544:
	s_mov_b32 s7, 0
	.p2align	6
.LBB4_1545:                             ; =>This Inner Loop Header: Depth=1
	s_sleep 1
	s_clause 0x1
	global_load_dwordx2 v[1:2], v0, s[26:27] offset:40
	global_load_dwordx2 v[8:9], v0, s[26:27]
	v_mov_b32_e32 v3, v6
	v_mov_b32_e32 v4, v7
	s_waitcnt vmcnt(1)
	v_and_b32_e32 v1, v1, v3
	v_and_b32_e32 v2, v2, v4
	s_waitcnt vmcnt(0)
	v_mad_u64_u32 v[5:6], null, v1, 24, v[8:9]
	v_mov_b32_e32 v1, v6
	v_mad_u64_u32 v[1:2], null, v2, 24, v[1:2]
	v_mov_b32_e32 v6, v1
	global_load_dwordx2 v[1:2], v[5:6], off glc dlc
	s_waitcnt vmcnt(0)
	global_atomic_cmpswap_x2 v[6:7], v0, v[1:4], s[26:27] offset:24 glc
	s_waitcnt vmcnt(0)
	buffer_gl1_inv
	buffer_gl0_inv
	v_cmp_eq_u64_e32 vcc_lo, v[6:7], v[3:4]
	s_or_b32 s7, vcc_lo, s7
	s_andn2_b32 exec_lo, exec_lo, s7
	s_cbranch_execnz .LBB4_1545
; %bb.1546:
	s_or_b32 exec_lo, exec_lo, s7
.LBB4_1547:
	s_or_b32 exec_lo, exec_lo, s6
.LBB4_1548:
	s_or_b32 exec_lo, exec_lo, s5
	v_mov_b32_e32 v5, 0
	v_readfirstlane_b32 s6, v6
	v_readfirstlane_b32 s7, v7
	s_mov_b32 s5, exec_lo
	s_clause 0x1
	global_load_dwordx2 v[8:9], v5, s[26:27] offset:40
	global_load_dwordx4 v[0:3], v5, s[26:27]
	s_waitcnt vmcnt(1)
	v_readfirstlane_b32 s8, v8
	v_readfirstlane_b32 s9, v9
	s_and_b64 s[8:9], s[6:7], s[8:9]
	s_mul_i32 s10, s9, 24
	s_mul_hi_u32 s11, s8, 24
	s_mul_i32 s15, s8, 24
	s_add_i32 s11, s11, s10
	s_waitcnt vmcnt(0)
	v_add_co_u32 v8, vcc_lo, v0, s15
	v_add_co_ci_u32_e32 v9, vcc_lo, s11, v1, vcc_lo
	s_and_saveexec_b32 s10, s4
	s_cbranch_execz .LBB4_1550
; %bb.1549:
	v_mov_b32_e32 v4, s5
	v_mov_b32_e32 v6, 2
	;; [unrolled: 1-line block ×3, first 2 shown]
	global_store_dwordx4 v[8:9], v[4:7], off offset:8
.LBB4_1550:
	s_or_b32 exec_lo, exec_lo, s10
	s_lshl_b64 s[8:9], s[8:9], 12
	v_mov_b32_e32 v4, 33
	v_add_co_u32 v2, vcc_lo, v2, s8
	v_add_co_ci_u32_e32 v3, vcc_lo, s9, v3, vcc_lo
	s_mov_b32 s8, 0
	v_add_co_u32 v10, vcc_lo, v2, v39
	s_mov_b32 s11, s8
	s_mov_b32 s9, s8
	;; [unrolled: 1-line block ×3, first 2 shown]
	v_mov_b32_e32 v6, v5
	v_mov_b32_e32 v7, v5
	v_readfirstlane_b32 s16, v2
	v_readfirstlane_b32 s17, v3
	v_mov_b32_e32 v15, s11
	v_add_co_ci_u32_e32 v11, vcc_lo, 0, v3, vcc_lo
	v_mov_b32_e32 v14, s10
	v_mov_b32_e32 v13, s9
	;; [unrolled: 1-line block ×3, first 2 shown]
	global_store_dwordx4 v39, v[4:7], s[16:17]
	global_store_dwordx4 v39, v[12:15], s[16:17] offset:16
	global_store_dwordx4 v39, v[12:15], s[16:17] offset:32
	;; [unrolled: 1-line block ×3, first 2 shown]
	s_and_saveexec_b32 s5, s4
	s_mov_b64 s[8:9], s[22:23]
	s_cbranch_execz .LBB4_1558
; %bb.1551:
	v_mov_b32_e32 v6, 0
	v_mov_b32_e32 v12, s6
	;; [unrolled: 1-line block ×3, first 2 shown]
	s_clause 0x1
	global_load_dwordx2 v[14:15], v6, s[26:27] offset:32 glc dlc
	global_load_dwordx2 v[2:3], v6, s[26:27] offset:40
	s_waitcnt vmcnt(0)
	v_readfirstlane_b32 s10, v2
	v_readfirstlane_b32 s11, v3
	s_and_b64 s[10:11], s[10:11], s[6:7]
	s_mul_i32 s11, s11, 24
	s_mul_hi_u32 s15, s10, 24
	s_mul_i32 s10, s10, 24
	s_add_i32 s15, s15, s11
	v_add_co_u32 v4, vcc_lo, v0, s10
	v_add_co_ci_u32_e32 v5, vcc_lo, s15, v1, vcc_lo
	s_mov_b32 s10, exec_lo
	global_store_dwordx2 v[4:5], v[14:15], off
	s_waitcnt_vscnt null, 0x0
	global_atomic_cmpswap_x2 v[2:3], v6, v[12:15], s[26:27] offset:32 glc
	s_waitcnt vmcnt(0)
	v_cmpx_ne_u64_e64 v[2:3], v[14:15]
	s_cbranch_execz .LBB4_1554
; %bb.1552:
	s_mov_b32 s11, 0
.LBB4_1553:                             ; =>This Inner Loop Header: Depth=1
	v_mov_b32_e32 v0, s6
	v_mov_b32_e32 v1, s7
	s_sleep 1
	global_store_dwordx2 v[4:5], v[2:3], off
	s_waitcnt_vscnt null, 0x0
	global_atomic_cmpswap_x2 v[0:1], v6, v[0:3], s[26:27] offset:32 glc
	s_waitcnt vmcnt(0)
	v_cmp_eq_u64_e32 vcc_lo, v[0:1], v[2:3]
	v_mov_b32_e32 v3, v1
	v_mov_b32_e32 v2, v0
	s_or_b32 s11, vcc_lo, s11
	s_andn2_b32 exec_lo, exec_lo, s11
	s_cbranch_execnz .LBB4_1553
.LBB4_1554:
	s_or_b32 exec_lo, exec_lo, s10
	v_mov_b32_e32 v3, 0
	s_mov_b32 s11, exec_lo
	s_mov_b32 s10, exec_lo
	v_mbcnt_lo_u32_b32 v2, s11, 0
	global_load_dwordx2 v[0:1], v3, s[26:27] offset:16
	v_cmpx_eq_u32_e32 0, v2
	s_cbranch_execz .LBB4_1556
; %bb.1555:
	s_bcnt1_i32_b32 s11, s11
	v_mov_b32_e32 v2, s11
	s_waitcnt vmcnt(0)
	global_atomic_add_x2 v[0:1], v[2:3], off offset:8
.LBB4_1556:
	s_or_b32 exec_lo, exec_lo, s10
	s_waitcnt vmcnt(0)
	global_load_dwordx2 v[2:3], v[0:1], off offset:16
	s_waitcnt vmcnt(0)
	v_cmp_eq_u64_e32 vcc_lo, 0, v[2:3]
	s_cbranch_vccnz .LBB4_1558
; %bb.1557:
	global_load_dword v0, v[0:1], off offset:24
	v_mov_b32_e32 v1, 0
	s_waitcnt vmcnt(0)
	v_and_b32_e32 v4, 0x7fffff, v0
	s_waitcnt_vscnt null, 0x0
	global_store_dwordx2 v[2:3], v[0:1], off
	v_readfirstlane_b32 m0, v4
	s_sendmsg sendmsg(MSG_INTERRUPT)
.LBB4_1558:
	s_or_b32 exec_lo, exec_lo, s5
	s_branch .LBB4_1562
	.p2align	6
.LBB4_1559:                             ;   in Loop: Header=BB4_1562 Depth=1
	s_or_b32 exec_lo, exec_lo, s5
	v_readfirstlane_b32 s5, v0
	s_cmp_eq_u32 s5, 0
	s_cbranch_scc1 .LBB4_1561
; %bb.1560:                             ;   in Loop: Header=BB4_1562 Depth=1
	s_sleep 1
	s_cbranch_execnz .LBB4_1562
	s_branch .LBB4_1564
	.p2align	6
.LBB4_1561:
	s_branch .LBB4_1564
.LBB4_1562:                             ; =>This Inner Loop Header: Depth=1
	v_mov_b32_e32 v0, 1
	s_and_saveexec_b32 s5, s4
	s_cbranch_execz .LBB4_1559
; %bb.1563:                             ;   in Loop: Header=BB4_1562 Depth=1
	global_load_dword v0, v[8:9], off offset:20 glc dlc
	s_waitcnt vmcnt(0)
	buffer_gl1_inv
	buffer_gl0_inv
	v_and_b32_e32 v0, 1, v0
	s_branch .LBB4_1559
.LBB4_1564:
	global_load_dwordx2 v[0:1], v[10:11], off
	s_and_saveexec_b32 s5, s4
	s_cbranch_execz .LBB4_1568
; %bb.1565:
	v_mov_b32_e32 v8, 0
	s_clause 0x2
	global_load_dwordx2 v[4:5], v8, s[26:27] offset:40
	global_load_dwordx2 v[9:10], v8, s[26:27] offset:24 glc dlc
	global_load_dwordx2 v[6:7], v8, s[26:27]
	s_waitcnt vmcnt(2)
	v_add_co_u32 v11, vcc_lo, v4, 1
	v_add_co_ci_u32_e32 v12, vcc_lo, 0, v5, vcc_lo
	v_add_co_u32 v2, vcc_lo, v11, s6
	v_add_co_ci_u32_e32 v3, vcc_lo, s7, v12, vcc_lo
	v_cmp_eq_u64_e32 vcc_lo, 0, v[2:3]
	v_cndmask_b32_e32 v3, v3, v12, vcc_lo
	v_cndmask_b32_e32 v2, v2, v11, vcc_lo
	v_and_b32_e32 v5, v3, v5
	v_and_b32_e32 v4, v2, v4
	v_mul_lo_u32 v5, v5, 24
	v_mul_hi_u32 v11, v4, 24
	v_mul_lo_u32 v4, v4, 24
	v_add_nc_u32_e32 v5, v11, v5
	s_waitcnt vmcnt(0)
	v_add_co_u32 v6, vcc_lo, v6, v4
	v_mov_b32_e32 v4, v9
	v_add_co_ci_u32_e32 v7, vcc_lo, v7, v5, vcc_lo
	v_mov_b32_e32 v5, v10
	global_store_dwordx2 v[6:7], v[9:10], off
	s_waitcnt_vscnt null, 0x0
	global_atomic_cmpswap_x2 v[4:5], v8, v[2:5], s[26:27] offset:24 glc
	s_waitcnt vmcnt(0)
	v_cmp_ne_u64_e32 vcc_lo, v[4:5], v[9:10]
	s_and_b32 exec_lo, exec_lo, vcc_lo
	s_cbranch_execz .LBB4_1568
; %bb.1566:
	s_mov_b32 s4, 0
.LBB4_1567:                             ; =>This Inner Loop Header: Depth=1
	s_sleep 1
	global_store_dwordx2 v[6:7], v[4:5], off
	s_waitcnt_vscnt null, 0x0
	global_atomic_cmpswap_x2 v[9:10], v8, v[2:5], s[26:27] offset:24 glc
	s_waitcnt vmcnt(0)
	v_cmp_eq_u64_e32 vcc_lo, v[9:10], v[4:5]
	v_mov_b32_e32 v4, v9
	v_mov_b32_e32 v5, v10
	s_or_b32 s4, vcc_lo, s4
	s_andn2_b32 exec_lo, exec_lo, s4
	s_cbranch_execnz .LBB4_1567
.LBB4_1568:
	s_or_b32 exec_lo, exec_lo, s5
	s_and_b32 vcc_lo, exec_lo, s35
	s_cbranch_vccz .LBB4_1647
; %bb.1569:
	s_waitcnt vmcnt(0)
	v_and_b32_e32 v31, 2, v0
	v_mov_b32_e32 v6, 0
	v_and_b32_e32 v2, -3, v0
	v_mov_b32_e32 v3, v1
	v_mov_b32_e32 v7, 2
	;; [unrolled: 1-line block ×3, first 2 shown]
	s_mov_b64 s[10:11], 3
	s_getpc_b64 s[6:7]
	s_add_u32 s6, s6, .str.6@rel32@lo+4
	s_addc_u32 s7, s7, .str.6@rel32@hi+12
	s_branch .LBB4_1571
.LBB4_1570:                             ;   in Loop: Header=BB4_1571 Depth=1
	s_or_b32 exec_lo, exec_lo, s5
	s_sub_u32 s10, s10, s16
	s_subb_u32 s11, s11, s17
	s_add_u32 s6, s6, s16
	s_addc_u32 s7, s7, s17
	s_cmp_lg_u64 s[10:11], 0
	s_cbranch_scc0 .LBB4_1646
.LBB4_1571:                             ; =>This Loop Header: Depth=1
                                        ;     Child Loop BB4_1580 Depth 2
                                        ;     Child Loop BB4_1576 Depth 2
	;; [unrolled: 1-line block ×11, first 2 shown]
	v_cmp_lt_u64_e64 s4, s[10:11], 56
	v_cmp_gt_u64_e64 s5, s[10:11], 7
                                        ; implicit-def: $vgpr11_vgpr12
                                        ; implicit-def: $sgpr15
	s_and_b32 s4, s4, exec_lo
	s_cselect_b32 s17, s11, 0
	s_cselect_b32 s16, s10, 56
	s_and_b32 vcc_lo, exec_lo, s5
	s_mov_b32 s4, -1
	s_cbranch_vccz .LBB4_1578
; %bb.1572:                             ;   in Loop: Header=BB4_1571 Depth=1
	s_andn2_b32 vcc_lo, exec_lo, s4
	s_mov_b64 s[4:5], s[6:7]
	s_cbranch_vccz .LBB4_1582
.LBB4_1573:                             ;   in Loop: Header=BB4_1571 Depth=1
	s_cmp_gt_u32 s15, 7
	s_cbranch_scc1 .LBB4_1583
.LBB4_1574:                             ;   in Loop: Header=BB4_1571 Depth=1
	v_mov_b32_e32 v13, 0
	v_mov_b32_e32 v14, 0
	s_cmp_eq_u32 s15, 0
	s_cbranch_scc1 .LBB4_1577
; %bb.1575:                             ;   in Loop: Header=BB4_1571 Depth=1
	s_mov_b64 s[18:19], 0
	s_mov_b64 s[20:21], 0
.LBB4_1576:                             ;   Parent Loop BB4_1571 Depth=1
                                        ; =>  This Inner Loop Header: Depth=2
	s_add_u32 s22, s4, s20
	s_addc_u32 s23, s5, s21
	s_add_u32 s20, s20, 1
	global_load_ubyte v4, v6, s[22:23]
	s_addc_u32 s21, s21, 0
	s_waitcnt vmcnt(0)
	v_and_b32_e32 v5, 0xffff, v4
	v_lshlrev_b64 v[4:5], s18, v[5:6]
	s_add_u32 s18, s18, 8
	s_addc_u32 s19, s19, 0
	s_cmp_lg_u32 s15, s20
	v_or_b32_e32 v13, v4, v13
	v_or_b32_e32 v14, v5, v14
	s_cbranch_scc1 .LBB4_1576
.LBB4_1577:                             ;   in Loop: Header=BB4_1571 Depth=1
	s_mov_b32 s22, 0
	s_cbranch_execz .LBB4_1584
	s_branch .LBB4_1585
.LBB4_1578:                             ;   in Loop: Header=BB4_1571 Depth=1
	v_mov_b32_e32 v11, 0
	v_mov_b32_e32 v12, 0
	s_cmp_eq_u64 s[10:11], 0
	s_mov_b64 s[4:5], 0
	s_cbranch_scc1 .LBB4_1581
; %bb.1579:                             ;   in Loop: Header=BB4_1571 Depth=1
	v_mov_b32_e32 v11, 0
	v_mov_b32_e32 v12, 0
	s_lshl_b64 s[18:19], s[16:17], 3
	s_mov_b64 s[20:21], s[6:7]
.LBB4_1580:                             ;   Parent Loop BB4_1571 Depth=1
                                        ; =>  This Inner Loop Header: Depth=2
	global_load_ubyte v4, v6, s[20:21]
	s_waitcnt vmcnt(0)
	v_and_b32_e32 v5, 0xffff, v4
	v_lshlrev_b64 v[4:5], s4, v[5:6]
	s_add_u32 s4, s4, 8
	s_addc_u32 s5, s5, 0
	s_add_u32 s20, s20, 1
	s_addc_u32 s21, s21, 0
	s_cmp_lg_u32 s18, s4
	v_or_b32_e32 v11, v4, v11
	v_or_b32_e32 v12, v5, v12
	s_cbranch_scc1 .LBB4_1580
.LBB4_1581:                             ;   in Loop: Header=BB4_1571 Depth=1
	s_mov_b32 s15, 0
	s_mov_b64 s[4:5], s[6:7]
	s_cbranch_execnz .LBB4_1573
.LBB4_1582:                             ;   in Loop: Header=BB4_1571 Depth=1
	global_load_dwordx2 v[11:12], v6, s[6:7]
	s_add_i32 s15, s16, -8
	s_add_u32 s4, s6, 8
	s_addc_u32 s5, s7, 0
	s_cmp_gt_u32 s15, 7
	s_cbranch_scc0 .LBB4_1574
.LBB4_1583:                             ;   in Loop: Header=BB4_1571 Depth=1
                                        ; implicit-def: $vgpr13_vgpr14
                                        ; implicit-def: $sgpr22
.LBB4_1584:                             ;   in Loop: Header=BB4_1571 Depth=1
	global_load_dwordx2 v[13:14], v6, s[4:5]
	s_add_i32 s22, s15, -8
	s_add_u32 s4, s4, 8
	s_addc_u32 s5, s5, 0
.LBB4_1585:                             ;   in Loop: Header=BB4_1571 Depth=1
	s_cmp_gt_u32 s22, 7
	s_cbranch_scc1 .LBB4_1590
; %bb.1586:                             ;   in Loop: Header=BB4_1571 Depth=1
	v_mov_b32_e32 v15, 0
	v_mov_b32_e32 v16, 0
	s_cmp_eq_u32 s22, 0
	s_cbranch_scc1 .LBB4_1589
; %bb.1587:                             ;   in Loop: Header=BB4_1571 Depth=1
	s_mov_b64 s[18:19], 0
	s_mov_b64 s[20:21], 0
.LBB4_1588:                             ;   Parent Loop BB4_1571 Depth=1
                                        ; =>  This Inner Loop Header: Depth=2
	s_add_u32 s24, s4, s20
	s_addc_u32 s25, s5, s21
	s_add_u32 s20, s20, 1
	global_load_ubyte v4, v6, s[24:25]
	s_addc_u32 s21, s21, 0
	s_waitcnt vmcnt(0)
	v_and_b32_e32 v5, 0xffff, v4
	v_lshlrev_b64 v[4:5], s18, v[5:6]
	s_add_u32 s18, s18, 8
	s_addc_u32 s19, s19, 0
	s_cmp_lg_u32 s22, s20
	v_or_b32_e32 v15, v4, v15
	v_or_b32_e32 v16, v5, v16
	s_cbranch_scc1 .LBB4_1588
.LBB4_1589:                             ;   in Loop: Header=BB4_1571 Depth=1
	s_mov_b32 s15, 0
	s_cbranch_execz .LBB4_1591
	s_branch .LBB4_1592
.LBB4_1590:                             ;   in Loop: Header=BB4_1571 Depth=1
                                        ; implicit-def: $sgpr15
.LBB4_1591:                             ;   in Loop: Header=BB4_1571 Depth=1
	global_load_dwordx2 v[15:16], v6, s[4:5]
	s_add_i32 s15, s22, -8
	s_add_u32 s4, s4, 8
	s_addc_u32 s5, s5, 0
.LBB4_1592:                             ;   in Loop: Header=BB4_1571 Depth=1
	s_cmp_gt_u32 s15, 7
	s_cbranch_scc1 .LBB4_1597
; %bb.1593:                             ;   in Loop: Header=BB4_1571 Depth=1
	v_mov_b32_e32 v17, 0
	v_mov_b32_e32 v18, 0
	s_cmp_eq_u32 s15, 0
	s_cbranch_scc1 .LBB4_1596
; %bb.1594:                             ;   in Loop: Header=BB4_1571 Depth=1
	s_mov_b64 s[18:19], 0
	s_mov_b64 s[20:21], 0
.LBB4_1595:                             ;   Parent Loop BB4_1571 Depth=1
                                        ; =>  This Inner Loop Header: Depth=2
	s_add_u32 s22, s4, s20
	s_addc_u32 s23, s5, s21
	s_add_u32 s20, s20, 1
	global_load_ubyte v4, v6, s[22:23]
	s_addc_u32 s21, s21, 0
	s_waitcnt vmcnt(0)
	v_and_b32_e32 v5, 0xffff, v4
	v_lshlrev_b64 v[4:5], s18, v[5:6]
	s_add_u32 s18, s18, 8
	s_addc_u32 s19, s19, 0
	s_cmp_lg_u32 s15, s20
	v_or_b32_e32 v17, v4, v17
	v_or_b32_e32 v18, v5, v18
	s_cbranch_scc1 .LBB4_1595
.LBB4_1596:                             ;   in Loop: Header=BB4_1571 Depth=1
	s_mov_b32 s22, 0
	s_cbranch_execz .LBB4_1598
	s_branch .LBB4_1599
.LBB4_1597:                             ;   in Loop: Header=BB4_1571 Depth=1
                                        ; implicit-def: $vgpr17_vgpr18
                                        ; implicit-def: $sgpr22
.LBB4_1598:                             ;   in Loop: Header=BB4_1571 Depth=1
	global_load_dwordx2 v[17:18], v6, s[4:5]
	s_add_i32 s22, s15, -8
	s_add_u32 s4, s4, 8
	s_addc_u32 s5, s5, 0
.LBB4_1599:                             ;   in Loop: Header=BB4_1571 Depth=1
	s_cmp_gt_u32 s22, 7
	s_cbranch_scc1 .LBB4_1604
; %bb.1600:                             ;   in Loop: Header=BB4_1571 Depth=1
	v_mov_b32_e32 v19, 0
	v_mov_b32_e32 v20, 0
	s_cmp_eq_u32 s22, 0
	s_cbranch_scc1 .LBB4_1603
; %bb.1601:                             ;   in Loop: Header=BB4_1571 Depth=1
	s_mov_b64 s[18:19], 0
	s_mov_b64 s[20:21], 0
.LBB4_1602:                             ;   Parent Loop BB4_1571 Depth=1
                                        ; =>  This Inner Loop Header: Depth=2
	s_add_u32 s24, s4, s20
	s_addc_u32 s25, s5, s21
	s_add_u32 s20, s20, 1
	global_load_ubyte v4, v6, s[24:25]
	s_addc_u32 s21, s21, 0
	s_waitcnt vmcnt(0)
	v_and_b32_e32 v5, 0xffff, v4
	v_lshlrev_b64 v[4:5], s18, v[5:6]
	s_add_u32 s18, s18, 8
	s_addc_u32 s19, s19, 0
	s_cmp_lg_u32 s22, s20
	v_or_b32_e32 v19, v4, v19
	v_or_b32_e32 v20, v5, v20
	s_cbranch_scc1 .LBB4_1602
.LBB4_1603:                             ;   in Loop: Header=BB4_1571 Depth=1
	s_mov_b32 s15, 0
	s_cbranch_execz .LBB4_1605
	s_branch .LBB4_1606
.LBB4_1604:                             ;   in Loop: Header=BB4_1571 Depth=1
                                        ; implicit-def: $sgpr15
.LBB4_1605:                             ;   in Loop: Header=BB4_1571 Depth=1
	global_load_dwordx2 v[19:20], v6, s[4:5]
	s_add_i32 s15, s22, -8
	s_add_u32 s4, s4, 8
	s_addc_u32 s5, s5, 0
.LBB4_1606:                             ;   in Loop: Header=BB4_1571 Depth=1
	s_cmp_gt_u32 s15, 7
	s_cbranch_scc1 .LBB4_1611
; %bb.1607:                             ;   in Loop: Header=BB4_1571 Depth=1
	v_mov_b32_e32 v21, 0
	v_mov_b32_e32 v22, 0
	s_cmp_eq_u32 s15, 0
	s_cbranch_scc1 .LBB4_1610
; %bb.1608:                             ;   in Loop: Header=BB4_1571 Depth=1
	s_mov_b64 s[18:19], 0
	s_mov_b64 s[20:21], 0
.LBB4_1609:                             ;   Parent Loop BB4_1571 Depth=1
                                        ; =>  This Inner Loop Header: Depth=2
	s_add_u32 s22, s4, s20
	s_addc_u32 s23, s5, s21
	s_add_u32 s20, s20, 1
	global_load_ubyte v4, v6, s[22:23]
	s_addc_u32 s21, s21, 0
	s_waitcnt vmcnt(0)
	v_and_b32_e32 v5, 0xffff, v4
	v_lshlrev_b64 v[4:5], s18, v[5:6]
	s_add_u32 s18, s18, 8
	s_addc_u32 s19, s19, 0
	s_cmp_lg_u32 s15, s20
	v_or_b32_e32 v21, v4, v21
	v_or_b32_e32 v22, v5, v22
	s_cbranch_scc1 .LBB4_1609
.LBB4_1610:                             ;   in Loop: Header=BB4_1571 Depth=1
	s_mov_b32 s22, 0
	s_cbranch_execz .LBB4_1612
	s_branch .LBB4_1613
.LBB4_1611:                             ;   in Loop: Header=BB4_1571 Depth=1
                                        ; implicit-def: $vgpr21_vgpr22
                                        ; implicit-def: $sgpr22
.LBB4_1612:                             ;   in Loop: Header=BB4_1571 Depth=1
	global_load_dwordx2 v[21:22], v6, s[4:5]
	s_add_i32 s22, s15, -8
	s_add_u32 s4, s4, 8
	s_addc_u32 s5, s5, 0
.LBB4_1613:                             ;   in Loop: Header=BB4_1571 Depth=1
	s_cmp_gt_u32 s22, 7
	s_cbranch_scc1 .LBB4_1618
; %bb.1614:                             ;   in Loop: Header=BB4_1571 Depth=1
	v_mov_b32_e32 v23, 0
	v_mov_b32_e32 v24, 0
	s_cmp_eq_u32 s22, 0
	s_cbranch_scc1 .LBB4_1617
; %bb.1615:                             ;   in Loop: Header=BB4_1571 Depth=1
	s_mov_b64 s[18:19], 0
	s_mov_b64 s[20:21], s[4:5]
.LBB4_1616:                             ;   Parent Loop BB4_1571 Depth=1
                                        ; =>  This Inner Loop Header: Depth=2
	global_load_ubyte v4, v6, s[20:21]
	s_add_i32 s22, s22, -1
	s_waitcnt vmcnt(0)
	v_and_b32_e32 v5, 0xffff, v4
	v_lshlrev_b64 v[4:5], s18, v[5:6]
	s_add_u32 s18, s18, 8
	s_addc_u32 s19, s19, 0
	s_add_u32 s20, s20, 1
	s_addc_u32 s21, s21, 0
	s_cmp_lg_u32 s22, 0
	v_or_b32_e32 v23, v4, v23
	v_or_b32_e32 v24, v5, v24
	s_cbranch_scc1 .LBB4_1616
.LBB4_1617:                             ;   in Loop: Header=BB4_1571 Depth=1
	s_cbranch_execz .LBB4_1619
	s_branch .LBB4_1620
.LBB4_1618:                             ;   in Loop: Header=BB4_1571 Depth=1
.LBB4_1619:                             ;   in Loop: Header=BB4_1571 Depth=1
	global_load_dwordx2 v[23:24], v6, s[4:5]
.LBB4_1620:                             ;   in Loop: Header=BB4_1571 Depth=1
	v_readfirstlane_b32 s4, v50
	s_waitcnt vmcnt(0)
	v_mov_b32_e32 v4, 0
	v_mov_b32_e32 v5, 0
	v_cmp_eq_u32_e64 s4, s4, v50
	s_and_saveexec_b32 s5, s4
	s_cbranch_execz .LBB4_1626
; %bb.1621:                             ;   in Loop: Header=BB4_1571 Depth=1
	global_load_dwordx2 v[27:28], v6, s[26:27] offset:24 glc dlc
	s_waitcnt vmcnt(0)
	buffer_gl1_inv
	buffer_gl0_inv
	s_clause 0x1
	global_load_dwordx2 v[4:5], v6, s[26:27] offset:40
	global_load_dwordx2 v[9:10], v6, s[26:27]
	s_mov_b32 s15, exec_lo
	s_waitcnt vmcnt(1)
	v_and_b32_e32 v5, v5, v28
	v_and_b32_e32 v4, v4, v27
	v_mul_lo_u32 v5, v5, 24
	v_mul_hi_u32 v25, v4, 24
	v_mul_lo_u32 v4, v4, 24
	v_add_nc_u32_e32 v5, v25, v5
	s_waitcnt vmcnt(0)
	v_add_co_u32 v4, vcc_lo, v9, v4
	v_add_co_ci_u32_e32 v5, vcc_lo, v10, v5, vcc_lo
	global_load_dwordx2 v[25:26], v[4:5], off glc dlc
	s_waitcnt vmcnt(0)
	global_atomic_cmpswap_x2 v[4:5], v6, v[25:28], s[26:27] offset:24 glc
	s_waitcnt vmcnt(0)
	buffer_gl1_inv
	buffer_gl0_inv
	v_cmpx_ne_u64_e64 v[4:5], v[27:28]
	s_cbranch_execz .LBB4_1625
; %bb.1622:                             ;   in Loop: Header=BB4_1571 Depth=1
	s_mov_b32 s18, 0
	.p2align	6
.LBB4_1623:                             ;   Parent Loop BB4_1571 Depth=1
                                        ; =>  This Inner Loop Header: Depth=2
	s_sleep 1
	s_clause 0x1
	global_load_dwordx2 v[9:10], v6, s[26:27] offset:40
	global_load_dwordx2 v[25:26], v6, s[26:27]
	v_mov_b32_e32 v28, v5
	v_mov_b32_e32 v27, v4
	s_waitcnt vmcnt(1)
	v_and_b32_e32 v4, v9, v27
	v_and_b32_e32 v9, v10, v28
	s_waitcnt vmcnt(0)
	v_mad_u64_u32 v[4:5], null, v4, 24, v[25:26]
	v_mad_u64_u32 v[9:10], null, v9, 24, v[5:6]
	v_mov_b32_e32 v5, v9
	global_load_dwordx2 v[25:26], v[4:5], off glc dlc
	s_waitcnt vmcnt(0)
	global_atomic_cmpswap_x2 v[4:5], v6, v[25:28], s[26:27] offset:24 glc
	s_waitcnt vmcnt(0)
	buffer_gl1_inv
	buffer_gl0_inv
	v_cmp_eq_u64_e32 vcc_lo, v[4:5], v[27:28]
	s_or_b32 s18, vcc_lo, s18
	s_andn2_b32 exec_lo, exec_lo, s18
	s_cbranch_execnz .LBB4_1623
; %bb.1624:                             ;   in Loop: Header=BB4_1571 Depth=1
	s_or_b32 exec_lo, exec_lo, s18
.LBB4_1625:                             ;   in Loop: Header=BB4_1571 Depth=1
	s_or_b32 exec_lo, exec_lo, s15
.LBB4_1626:                             ;   in Loop: Header=BB4_1571 Depth=1
	s_or_b32 exec_lo, exec_lo, s5
	s_clause 0x1
	global_load_dwordx2 v[9:10], v6, s[26:27] offset:40
	global_load_dwordx4 v[25:28], v6, s[26:27]
	v_readfirstlane_b32 s18, v4
	v_readfirstlane_b32 s19, v5
	s_mov_b32 s5, exec_lo
	s_waitcnt vmcnt(1)
	v_readfirstlane_b32 s20, v9
	v_readfirstlane_b32 s21, v10
	s_and_b64 s[20:21], s[18:19], s[20:21]
	s_mul_i32 s15, s21, 24
	s_mul_hi_u32 s22, s20, 24
	s_mul_i32 s23, s20, 24
	s_add_i32 s22, s22, s15
	s_waitcnt vmcnt(0)
	v_add_co_u32 v29, vcc_lo, v25, s23
	v_add_co_ci_u32_e32 v30, vcc_lo, s22, v26, vcc_lo
	s_and_saveexec_b32 s15, s4
	s_cbranch_execz .LBB4_1628
; %bb.1627:                             ;   in Loop: Header=BB4_1571 Depth=1
	v_mov_b32_e32 v5, s5
	global_store_dwordx4 v[29:30], v[5:8], off offset:8
.LBB4_1628:                             ;   in Loop: Header=BB4_1571 Depth=1
	s_or_b32 exec_lo, exec_lo, s15
	s_lshl_b64 s[20:21], s[20:21], 12
	v_cmp_gt_u64_e64 vcc_lo, s[10:11], 56
	v_or_b32_e32 v5, v2, v31
	v_add_co_u32 v27, s5, v27, s20
	v_add_co_ci_u32_e64 v28, s5, s21, v28, s5
	s_lshl_b32 s5, s16, 2
	v_or_b32_e32 v4, 0, v3
	v_cndmask_b32_e32 v2, v5, v2, vcc_lo
	s_add_i32 s5, s5, 28
	v_readfirstlane_b32 s20, v27
	s_and_b32 s5, s5, 0x1e0
	v_cndmask_b32_e32 v10, v4, v3, vcc_lo
	v_readfirstlane_b32 s21, v28
	v_and_or_b32 v9, 0xffffff1f, v2, s5
	global_store_dwordx4 v39, v[9:12], s[20:21]
	global_store_dwordx4 v39, v[13:16], s[20:21] offset:16
	global_store_dwordx4 v39, v[17:20], s[20:21] offset:32
	;; [unrolled: 1-line block ×3, first 2 shown]
	s_and_saveexec_b32 s5, s4
	s_cbranch_execz .LBB4_1636
; %bb.1629:                             ;   in Loop: Header=BB4_1571 Depth=1
	s_clause 0x1
	global_load_dwordx2 v[13:14], v6, s[26:27] offset:32 glc dlc
	global_load_dwordx2 v[2:3], v6, s[26:27] offset:40
	v_mov_b32_e32 v11, s18
	v_mov_b32_e32 v12, s19
	s_waitcnt vmcnt(0)
	v_readfirstlane_b32 s20, v2
	v_readfirstlane_b32 s21, v3
	s_and_b64 s[20:21], s[20:21], s[18:19]
	s_mul_i32 s15, s21, 24
	s_mul_hi_u32 s21, s20, 24
	s_mul_i32 s20, s20, 24
	s_add_i32 s21, s21, s15
	v_add_co_u32 v9, vcc_lo, v25, s20
	v_add_co_ci_u32_e32 v10, vcc_lo, s21, v26, vcc_lo
	s_mov_b32 s15, exec_lo
	global_store_dwordx2 v[9:10], v[13:14], off
	s_waitcnt_vscnt null, 0x0
	global_atomic_cmpswap_x2 v[4:5], v6, v[11:14], s[26:27] offset:32 glc
	s_waitcnt vmcnt(0)
	v_cmpx_ne_u64_e64 v[4:5], v[13:14]
	s_cbranch_execz .LBB4_1632
; %bb.1630:                             ;   in Loop: Header=BB4_1571 Depth=1
	s_mov_b32 s20, 0
.LBB4_1631:                             ;   Parent Loop BB4_1571 Depth=1
                                        ; =>  This Inner Loop Header: Depth=2
	v_mov_b32_e32 v2, s18
	v_mov_b32_e32 v3, s19
	s_sleep 1
	global_store_dwordx2 v[9:10], v[4:5], off
	s_waitcnt_vscnt null, 0x0
	global_atomic_cmpswap_x2 v[2:3], v6, v[2:5], s[26:27] offset:32 glc
	s_waitcnt vmcnt(0)
	v_cmp_eq_u64_e32 vcc_lo, v[2:3], v[4:5]
	v_mov_b32_e32 v5, v3
	v_mov_b32_e32 v4, v2
	s_or_b32 s20, vcc_lo, s20
	s_andn2_b32 exec_lo, exec_lo, s20
	s_cbranch_execnz .LBB4_1631
.LBB4_1632:                             ;   in Loop: Header=BB4_1571 Depth=1
	s_or_b32 exec_lo, exec_lo, s15
	global_load_dwordx2 v[2:3], v6, s[26:27] offset:16
	s_mov_b32 s20, exec_lo
	s_mov_b32 s15, exec_lo
	v_mbcnt_lo_u32_b32 v4, s20, 0
	v_cmpx_eq_u32_e32 0, v4
	s_cbranch_execz .LBB4_1634
; %bb.1633:                             ;   in Loop: Header=BB4_1571 Depth=1
	s_bcnt1_i32_b32 s20, s20
	v_mov_b32_e32 v5, s20
	s_waitcnt vmcnt(0)
	global_atomic_add_x2 v[2:3], v[5:6], off offset:8
.LBB4_1634:                             ;   in Loop: Header=BB4_1571 Depth=1
	s_or_b32 exec_lo, exec_lo, s15
	s_waitcnt vmcnt(0)
	global_load_dwordx2 v[9:10], v[2:3], off offset:16
	s_waitcnt vmcnt(0)
	v_cmp_eq_u64_e32 vcc_lo, 0, v[9:10]
	s_cbranch_vccnz .LBB4_1636
; %bb.1635:                             ;   in Loop: Header=BB4_1571 Depth=1
	global_load_dword v5, v[2:3], off offset:24
	s_waitcnt vmcnt(0)
	v_and_b32_e32 v2, 0x7fffff, v5
	s_waitcnt_vscnt null, 0x0
	global_store_dwordx2 v[9:10], v[5:6], off
	v_readfirstlane_b32 m0, v2
	s_sendmsg sendmsg(MSG_INTERRUPT)
.LBB4_1636:                             ;   in Loop: Header=BB4_1571 Depth=1
	s_or_b32 exec_lo, exec_lo, s5
	v_add_co_u32 v2, vcc_lo, v27, v39
	v_add_co_ci_u32_e32 v3, vcc_lo, 0, v28, vcc_lo
	s_branch .LBB4_1640
	.p2align	6
.LBB4_1637:                             ;   in Loop: Header=BB4_1640 Depth=2
	s_or_b32 exec_lo, exec_lo, s5
	v_readfirstlane_b32 s5, v4
	s_cmp_eq_u32 s5, 0
	s_cbranch_scc1 .LBB4_1639
; %bb.1638:                             ;   in Loop: Header=BB4_1640 Depth=2
	s_sleep 1
	s_cbranch_execnz .LBB4_1640
	s_branch .LBB4_1642
	.p2align	6
.LBB4_1639:                             ;   in Loop: Header=BB4_1571 Depth=1
	s_branch .LBB4_1642
.LBB4_1640:                             ;   Parent Loop BB4_1571 Depth=1
                                        ; =>  This Inner Loop Header: Depth=2
	v_mov_b32_e32 v4, 1
	s_and_saveexec_b32 s5, s4
	s_cbranch_execz .LBB4_1637
; %bb.1641:                             ;   in Loop: Header=BB4_1640 Depth=2
	global_load_dword v4, v[29:30], off offset:20 glc dlc
	s_waitcnt vmcnt(0)
	buffer_gl1_inv
	buffer_gl0_inv
	v_and_b32_e32 v4, 1, v4
	s_branch .LBB4_1637
.LBB4_1642:                             ;   in Loop: Header=BB4_1571 Depth=1
	global_load_dwordx4 v[2:5], v[2:3], off
	s_and_saveexec_b32 s5, s4
	s_cbranch_execz .LBB4_1570
; %bb.1643:                             ;   in Loop: Header=BB4_1571 Depth=1
	s_clause 0x2
	global_load_dwordx2 v[4:5], v6, s[26:27] offset:40
	global_load_dwordx2 v[13:14], v6, s[26:27] offset:24 glc dlc
	global_load_dwordx2 v[11:12], v6, s[26:27]
	s_waitcnt vmcnt(2)
	v_add_co_u32 v15, vcc_lo, v4, 1
	v_add_co_ci_u32_e32 v16, vcc_lo, 0, v5, vcc_lo
	v_add_co_u32 v9, vcc_lo, v15, s18
	v_add_co_ci_u32_e32 v10, vcc_lo, s19, v16, vcc_lo
	v_cmp_eq_u64_e32 vcc_lo, 0, v[9:10]
	v_cndmask_b32_e32 v10, v10, v16, vcc_lo
	v_cndmask_b32_e32 v9, v9, v15, vcc_lo
	v_and_b32_e32 v5, v10, v5
	v_and_b32_e32 v4, v9, v4
	v_mul_lo_u32 v5, v5, 24
	v_mul_hi_u32 v15, v4, 24
	v_mul_lo_u32 v4, v4, 24
	v_add_nc_u32_e32 v5, v15, v5
	s_waitcnt vmcnt(0)
	v_add_co_u32 v4, vcc_lo, v11, v4
	v_mov_b32_e32 v11, v13
	v_add_co_ci_u32_e32 v5, vcc_lo, v12, v5, vcc_lo
	v_mov_b32_e32 v12, v14
	global_store_dwordx2 v[4:5], v[13:14], off
	s_waitcnt_vscnt null, 0x0
	global_atomic_cmpswap_x2 v[11:12], v6, v[9:12], s[26:27] offset:24 glc
	s_waitcnt vmcnt(0)
	v_cmp_ne_u64_e32 vcc_lo, v[11:12], v[13:14]
	s_and_b32 exec_lo, exec_lo, vcc_lo
	s_cbranch_execz .LBB4_1570
; %bb.1644:                             ;   in Loop: Header=BB4_1571 Depth=1
	s_mov_b32 s4, 0
.LBB4_1645:                             ;   Parent Loop BB4_1571 Depth=1
                                        ; =>  This Inner Loop Header: Depth=2
	s_sleep 1
	global_store_dwordx2 v[4:5], v[11:12], off
	s_waitcnt_vscnt null, 0x0
	global_atomic_cmpswap_x2 v[13:14], v6, v[9:12], s[26:27] offset:24 glc
	s_waitcnt vmcnt(0)
	v_cmp_eq_u64_e32 vcc_lo, v[13:14], v[11:12]
	v_mov_b32_e32 v11, v13
	v_mov_b32_e32 v12, v14
	s_or_b32 s4, vcc_lo, s4
	s_andn2_b32 exec_lo, exec_lo, s4
	s_cbranch_execnz .LBB4_1645
	s_branch .LBB4_1570
.LBB4_1646:
	s_branch .LBB4_1675
.LBB4_1647:
                                        ; implicit-def: $vgpr2_vgpr3
	s_cbranch_execz .LBB4_1675
; %bb.1648:
	v_readfirstlane_b32 s4, v50
	v_mov_b32_e32 v8, 0
	v_mov_b32_e32 v9, 0
	v_cmp_eq_u32_e64 s4, s4, v50
	s_and_saveexec_b32 s5, s4
	s_cbranch_execz .LBB4_1654
; %bb.1649:
	s_waitcnt vmcnt(0)
	v_mov_b32_e32 v2, 0
	s_mov_b32 s6, exec_lo
	global_load_dwordx2 v[5:6], v2, s[26:27] offset:24 glc dlc
	s_waitcnt vmcnt(0)
	buffer_gl1_inv
	buffer_gl0_inv
	s_clause 0x1
	global_load_dwordx2 v[3:4], v2, s[26:27] offset:40
	global_load_dwordx2 v[7:8], v2, s[26:27]
	s_waitcnt vmcnt(1)
	v_and_b32_e32 v4, v4, v6
	v_and_b32_e32 v3, v3, v5
	v_mul_lo_u32 v4, v4, 24
	v_mul_hi_u32 v9, v3, 24
	v_mul_lo_u32 v3, v3, 24
	v_add_nc_u32_e32 v4, v9, v4
	s_waitcnt vmcnt(0)
	v_add_co_u32 v3, vcc_lo, v7, v3
	v_add_co_ci_u32_e32 v4, vcc_lo, v8, v4, vcc_lo
	global_load_dwordx2 v[3:4], v[3:4], off glc dlc
	s_waitcnt vmcnt(0)
	global_atomic_cmpswap_x2 v[8:9], v2, v[3:6], s[26:27] offset:24 glc
	s_waitcnt vmcnt(0)
	buffer_gl1_inv
	buffer_gl0_inv
	v_cmpx_ne_u64_e64 v[8:9], v[5:6]
	s_cbranch_execz .LBB4_1653
; %bb.1650:
	s_mov_b32 s7, 0
	.p2align	6
.LBB4_1651:                             ; =>This Inner Loop Header: Depth=1
	s_sleep 1
	s_clause 0x1
	global_load_dwordx2 v[3:4], v2, s[26:27] offset:40
	global_load_dwordx2 v[10:11], v2, s[26:27]
	v_mov_b32_e32 v5, v8
	v_mov_b32_e32 v6, v9
	s_waitcnt vmcnt(1)
	v_and_b32_e32 v3, v3, v5
	v_and_b32_e32 v4, v4, v6
	s_waitcnt vmcnt(0)
	v_mad_u64_u32 v[7:8], null, v3, 24, v[10:11]
	v_mov_b32_e32 v3, v8
	v_mad_u64_u32 v[3:4], null, v4, 24, v[3:4]
	v_mov_b32_e32 v8, v3
	global_load_dwordx2 v[3:4], v[7:8], off glc dlc
	s_waitcnt vmcnt(0)
	global_atomic_cmpswap_x2 v[8:9], v2, v[3:6], s[26:27] offset:24 glc
	s_waitcnt vmcnt(0)
	buffer_gl1_inv
	buffer_gl0_inv
	v_cmp_eq_u64_e32 vcc_lo, v[8:9], v[5:6]
	s_or_b32 s7, vcc_lo, s7
	s_andn2_b32 exec_lo, exec_lo, s7
	s_cbranch_execnz .LBB4_1651
; %bb.1652:
	s_or_b32 exec_lo, exec_lo, s7
.LBB4_1653:
	s_or_b32 exec_lo, exec_lo, s6
.LBB4_1654:
	s_or_b32 exec_lo, exec_lo, s5
	s_waitcnt vmcnt(0)
	v_mov_b32_e32 v2, 0
	v_readfirstlane_b32 s6, v8
	v_readfirstlane_b32 s7, v9
	s_mov_b32 s5, exec_lo
	s_clause 0x1
	global_load_dwordx2 v[10:11], v2, s[26:27] offset:40
	global_load_dwordx4 v[4:7], v2, s[26:27]
	s_waitcnt vmcnt(1)
	v_readfirstlane_b32 s10, v10
	v_readfirstlane_b32 s11, v11
	s_and_b64 s[10:11], s[6:7], s[10:11]
	s_mul_i32 s15, s11, 24
	s_mul_hi_u32 s16, s10, 24
	s_mul_i32 s17, s10, 24
	s_add_i32 s16, s16, s15
	s_waitcnt vmcnt(0)
	v_add_co_u32 v8, vcc_lo, v4, s17
	v_add_co_ci_u32_e32 v9, vcc_lo, s16, v5, vcc_lo
	s_and_saveexec_b32 s15, s4
	s_cbranch_execz .LBB4_1656
; %bb.1655:
	v_mov_b32_e32 v10, s5
	v_mov_b32_e32 v11, v2
	v_mov_b32_e32 v12, 2
	v_mov_b32_e32 v13, 1
	global_store_dwordx4 v[8:9], v[10:13], off offset:8
.LBB4_1656:
	s_or_b32 exec_lo, exec_lo, s15
	s_lshl_b64 s[10:11], s[10:11], 12
	s_mov_b32 s16, 0
	v_add_co_u32 v6, vcc_lo, v6, s10
	v_add_co_ci_u32_e32 v7, vcc_lo, s11, v7, vcc_lo
	s_mov_b32 s17, s16
	v_readfirstlane_b32 s10, v6
	v_add_co_u32 v6, vcc_lo, v6, v39
	s_mov_b32 s18, s16
	s_mov_b32 s19, s16
	v_and_or_b32 v0, 0xffffff1f, v0, 32
	v_mov_b32_e32 v3, v2
	v_readfirstlane_b32 s11, v7
	v_mov_b32_e32 v10, s16
	v_add_co_ci_u32_e32 v7, vcc_lo, 0, v7, vcc_lo
	v_mov_b32_e32 v11, s17
	v_mov_b32_e32 v12, s18
	;; [unrolled: 1-line block ×3, first 2 shown]
	global_store_dwordx4 v39, v[0:3], s[10:11]
	global_store_dwordx4 v39, v[10:13], s[10:11] offset:16
	global_store_dwordx4 v39, v[10:13], s[10:11] offset:32
	;; [unrolled: 1-line block ×3, first 2 shown]
	s_and_saveexec_b32 s5, s4
	s_cbranch_execz .LBB4_1664
; %bb.1657:
	v_mov_b32_e32 v10, 0
	v_mov_b32_e32 v11, s6
	;; [unrolled: 1-line block ×3, first 2 shown]
	s_clause 0x1
	global_load_dwordx2 v[13:14], v10, s[26:27] offset:32 glc dlc
	global_load_dwordx2 v[0:1], v10, s[26:27] offset:40
	s_waitcnt vmcnt(0)
	v_readfirstlane_b32 s10, v0
	v_readfirstlane_b32 s11, v1
	s_and_b64 s[10:11], s[10:11], s[6:7]
	s_mul_i32 s11, s11, 24
	s_mul_hi_u32 s15, s10, 24
	s_mul_i32 s10, s10, 24
	s_add_i32 s15, s15, s11
	v_add_co_u32 v4, vcc_lo, v4, s10
	v_add_co_ci_u32_e32 v5, vcc_lo, s15, v5, vcc_lo
	s_mov_b32 s10, exec_lo
	global_store_dwordx2 v[4:5], v[13:14], off
	s_waitcnt_vscnt null, 0x0
	global_atomic_cmpswap_x2 v[2:3], v10, v[11:14], s[26:27] offset:32 glc
	s_waitcnt vmcnt(0)
	v_cmpx_ne_u64_e64 v[2:3], v[13:14]
	s_cbranch_execz .LBB4_1660
; %bb.1658:
	s_mov_b32 s11, 0
.LBB4_1659:                             ; =>This Inner Loop Header: Depth=1
	v_mov_b32_e32 v0, s6
	v_mov_b32_e32 v1, s7
	s_sleep 1
	global_store_dwordx2 v[4:5], v[2:3], off
	s_waitcnt_vscnt null, 0x0
	global_atomic_cmpswap_x2 v[0:1], v10, v[0:3], s[26:27] offset:32 glc
	s_waitcnt vmcnt(0)
	v_cmp_eq_u64_e32 vcc_lo, v[0:1], v[2:3]
	v_mov_b32_e32 v3, v1
	v_mov_b32_e32 v2, v0
	s_or_b32 s11, vcc_lo, s11
	s_andn2_b32 exec_lo, exec_lo, s11
	s_cbranch_execnz .LBB4_1659
.LBB4_1660:
	s_or_b32 exec_lo, exec_lo, s10
	v_mov_b32_e32 v3, 0
	s_mov_b32 s11, exec_lo
	s_mov_b32 s10, exec_lo
	v_mbcnt_lo_u32_b32 v2, s11, 0
	global_load_dwordx2 v[0:1], v3, s[26:27] offset:16
	v_cmpx_eq_u32_e32 0, v2
	s_cbranch_execz .LBB4_1662
; %bb.1661:
	s_bcnt1_i32_b32 s11, s11
	v_mov_b32_e32 v2, s11
	s_waitcnt vmcnt(0)
	global_atomic_add_x2 v[0:1], v[2:3], off offset:8
.LBB4_1662:
	s_or_b32 exec_lo, exec_lo, s10
	s_waitcnt vmcnt(0)
	global_load_dwordx2 v[2:3], v[0:1], off offset:16
	s_waitcnt vmcnt(0)
	v_cmp_eq_u64_e32 vcc_lo, 0, v[2:3]
	s_cbranch_vccnz .LBB4_1664
; %bb.1663:
	global_load_dword v0, v[0:1], off offset:24
	v_mov_b32_e32 v1, 0
	s_waitcnt vmcnt(0)
	v_and_b32_e32 v4, 0x7fffff, v0
	s_waitcnt_vscnt null, 0x0
	global_store_dwordx2 v[2:3], v[0:1], off
	v_readfirstlane_b32 m0, v4
	s_sendmsg sendmsg(MSG_INTERRUPT)
.LBB4_1664:
	s_or_b32 exec_lo, exec_lo, s5
	s_branch .LBB4_1668
	.p2align	6
.LBB4_1665:                             ;   in Loop: Header=BB4_1668 Depth=1
	s_or_b32 exec_lo, exec_lo, s5
	v_readfirstlane_b32 s5, v0
	s_cmp_eq_u32 s5, 0
	s_cbranch_scc1 .LBB4_1667
; %bb.1666:                             ;   in Loop: Header=BB4_1668 Depth=1
	s_sleep 1
	s_cbranch_execnz .LBB4_1668
	s_branch .LBB4_1670
	.p2align	6
.LBB4_1667:
	s_branch .LBB4_1670
.LBB4_1668:                             ; =>This Inner Loop Header: Depth=1
	v_mov_b32_e32 v0, 1
	s_and_saveexec_b32 s5, s4
	s_cbranch_execz .LBB4_1665
; %bb.1669:                             ;   in Loop: Header=BB4_1668 Depth=1
	global_load_dword v0, v[8:9], off offset:20 glc dlc
	s_waitcnt vmcnt(0)
	buffer_gl1_inv
	buffer_gl0_inv
	v_and_b32_e32 v0, 1, v0
	s_branch .LBB4_1665
.LBB4_1670:
	global_load_dwordx2 v[2:3], v[6:7], off
	s_and_saveexec_b32 s5, s4
	s_cbranch_execz .LBB4_1674
; %bb.1671:
	v_mov_b32_e32 v8, 0
	s_clause 0x2
	global_load_dwordx2 v[0:1], v8, s[26:27] offset:40
	global_load_dwordx2 v[9:10], v8, s[26:27] offset:24 glc dlc
	global_load_dwordx2 v[6:7], v8, s[26:27]
	s_waitcnt vmcnt(2)
	v_add_co_u32 v11, vcc_lo, v0, 1
	v_add_co_ci_u32_e32 v12, vcc_lo, 0, v1, vcc_lo
	v_add_co_u32 v4, vcc_lo, v11, s6
	v_add_co_ci_u32_e32 v5, vcc_lo, s7, v12, vcc_lo
	v_cmp_eq_u64_e32 vcc_lo, 0, v[4:5]
	v_cndmask_b32_e32 v5, v5, v12, vcc_lo
	v_cndmask_b32_e32 v4, v4, v11, vcc_lo
	v_and_b32_e32 v1, v5, v1
	v_and_b32_e32 v0, v4, v0
	v_mul_lo_u32 v1, v1, 24
	v_mul_hi_u32 v11, v0, 24
	v_mul_lo_u32 v0, v0, 24
	v_add_nc_u32_e32 v1, v11, v1
	s_waitcnt vmcnt(0)
	v_add_co_u32 v0, vcc_lo, v6, v0
	v_mov_b32_e32 v6, v9
	v_add_co_ci_u32_e32 v1, vcc_lo, v7, v1, vcc_lo
	v_mov_b32_e32 v7, v10
	global_store_dwordx2 v[0:1], v[9:10], off
	s_waitcnt_vscnt null, 0x0
	global_atomic_cmpswap_x2 v[6:7], v8, v[4:7], s[26:27] offset:24 glc
	s_waitcnt vmcnt(0)
	v_cmp_ne_u64_e32 vcc_lo, v[6:7], v[9:10]
	s_and_b32 exec_lo, exec_lo, vcc_lo
	s_cbranch_execz .LBB4_1674
; %bb.1672:
	s_mov_b32 s4, 0
.LBB4_1673:                             ; =>This Inner Loop Header: Depth=1
	s_sleep 1
	global_store_dwordx2 v[0:1], v[6:7], off
	s_waitcnt_vscnt null, 0x0
	global_atomic_cmpswap_x2 v[9:10], v8, v[4:7], s[26:27] offset:24 glc
	s_waitcnt vmcnt(0)
	v_cmp_eq_u64_e32 vcc_lo, v[9:10], v[6:7]
	v_mov_b32_e32 v6, v9
	v_mov_b32_e32 v7, v10
	s_or_b32 s4, vcc_lo, s4
	s_andn2_b32 exec_lo, exec_lo, s4
	s_cbranch_execnz .LBB4_1673
.LBB4_1674:
	s_or_b32 exec_lo, exec_lo, s5
.LBB4_1675:
	v_readfirstlane_b32 s4, v50
	s_waitcnt vmcnt(0)
	v_mov_b32_e32 v0, 0
	v_mov_b32_e32 v1, 0
	v_cmp_eq_u32_e64 s4, s4, v50
	s_and_saveexec_b32 s5, s4
	s_cbranch_execz .LBB4_1681
; %bb.1676:
	v_mov_b32_e32 v4, 0
	s_mov_b32 s6, exec_lo
	global_load_dwordx2 v[7:8], v4, s[26:27] offset:24 glc dlc
	s_waitcnt vmcnt(0)
	buffer_gl1_inv
	buffer_gl0_inv
	s_clause 0x1
	global_load_dwordx2 v[0:1], v4, s[26:27] offset:40
	global_load_dwordx2 v[5:6], v4, s[26:27]
	s_waitcnt vmcnt(1)
	v_and_b32_e32 v1, v1, v8
	v_and_b32_e32 v0, v0, v7
	v_mul_lo_u32 v1, v1, 24
	v_mul_hi_u32 v9, v0, 24
	v_mul_lo_u32 v0, v0, 24
	v_add_nc_u32_e32 v1, v9, v1
	s_waitcnt vmcnt(0)
	v_add_co_u32 v0, vcc_lo, v5, v0
	v_add_co_ci_u32_e32 v1, vcc_lo, v6, v1, vcc_lo
	global_load_dwordx2 v[5:6], v[0:1], off glc dlc
	s_waitcnt vmcnt(0)
	global_atomic_cmpswap_x2 v[0:1], v4, v[5:8], s[26:27] offset:24 glc
	s_waitcnt vmcnt(0)
	buffer_gl1_inv
	buffer_gl0_inv
	v_cmpx_ne_u64_e64 v[0:1], v[7:8]
	s_cbranch_execz .LBB4_1680
; %bb.1677:
	s_mov_b32 s7, 0
	.p2align	6
.LBB4_1678:                             ; =>This Inner Loop Header: Depth=1
	s_sleep 1
	s_clause 0x1
	global_load_dwordx2 v[5:6], v4, s[26:27] offset:40
	global_load_dwordx2 v[9:10], v4, s[26:27]
	v_mov_b32_e32 v8, v1
	v_mov_b32_e32 v7, v0
	s_waitcnt vmcnt(1)
	v_and_b32_e32 v0, v5, v7
	v_and_b32_e32 v5, v6, v8
	s_waitcnt vmcnt(0)
	v_mad_u64_u32 v[0:1], null, v0, 24, v[9:10]
	v_mad_u64_u32 v[5:6], null, v5, 24, v[1:2]
	v_mov_b32_e32 v1, v5
	global_load_dwordx2 v[5:6], v[0:1], off glc dlc
	s_waitcnt vmcnt(0)
	global_atomic_cmpswap_x2 v[0:1], v4, v[5:8], s[26:27] offset:24 glc
	s_waitcnt vmcnt(0)
	buffer_gl1_inv
	buffer_gl0_inv
	v_cmp_eq_u64_e32 vcc_lo, v[0:1], v[7:8]
	s_or_b32 s7, vcc_lo, s7
	s_andn2_b32 exec_lo, exec_lo, s7
	s_cbranch_execnz .LBB4_1678
; %bb.1679:
	s_or_b32 exec_lo, exec_lo, s7
.LBB4_1680:
	s_or_b32 exec_lo, exec_lo, s6
.LBB4_1681:
	s_or_b32 exec_lo, exec_lo, s5
	v_mov_b32_e32 v5, 0
	v_readfirstlane_b32 s6, v0
	v_readfirstlane_b32 s7, v1
	s_mov_b32 s5, exec_lo
	s_clause 0x1
	global_load_dwordx2 v[10:11], v5, s[26:27] offset:40
	global_load_dwordx4 v[6:9], v5, s[26:27]
	s_waitcnt vmcnt(1)
	v_readfirstlane_b32 s10, v10
	v_readfirstlane_b32 s11, v11
	s_and_b64 s[10:11], s[6:7], s[10:11]
	s_mul_i32 s15, s11, 24
	s_mul_hi_u32 s16, s10, 24
	s_mul_i32 s17, s10, 24
	s_add_i32 s16, s16, s15
	s_waitcnt vmcnt(0)
	v_add_co_u32 v10, vcc_lo, v6, s17
	v_add_co_ci_u32_e32 v11, vcc_lo, s16, v7, vcc_lo
	s_and_saveexec_b32 s15, s4
	s_cbranch_execz .LBB4_1683
; %bb.1682:
	v_mov_b32_e32 v4, s5
	v_mov_b32_e32 v13, v5
	;; [unrolled: 1-line block ×5, first 2 shown]
	global_store_dwordx4 v[10:11], v[12:15], off offset:8
.LBB4_1683:
	s_or_b32 exec_lo, exec_lo, s15
	s_lshl_b64 s[10:11], s[10:11], 12
	s_mov_b32 s16, 0
	v_add_co_u32 v0, vcc_lo, v8, s10
	v_add_co_ci_u32_e32 v1, vcc_lo, s11, v9, vcc_lo
	s_mov_b32 s17, s16
	s_mov_b32 s18, s16
	;; [unrolled: 1-line block ×3, first 2 shown]
	v_and_or_b32 v2, 0xffffff1d, v2, 34
	v_mov_b32_e32 v4, 10
	v_readfirstlane_b32 s10, v0
	v_readfirstlane_b32 s11, v1
	v_mov_b32_e32 v12, s16
	v_mov_b32_e32 v13, s17
	;; [unrolled: 1-line block ×4, first 2 shown]
	global_store_dwordx4 v39, v[2:5], s[10:11]
	global_store_dwordx4 v39, v[12:15], s[10:11] offset:16
	global_store_dwordx4 v39, v[12:15], s[10:11] offset:32
	;; [unrolled: 1-line block ×3, first 2 shown]
	s_and_saveexec_b32 s5, s4
	s_cbranch_execz .LBB4_1691
; %bb.1684:
	v_mov_b32_e32 v8, 0
	v_mov_b32_e32 v12, s6
	;; [unrolled: 1-line block ×3, first 2 shown]
	s_clause 0x1
	global_load_dwordx2 v[14:15], v8, s[26:27] offset:32 glc dlc
	global_load_dwordx2 v[0:1], v8, s[26:27] offset:40
	s_waitcnt vmcnt(0)
	v_readfirstlane_b32 s10, v0
	v_readfirstlane_b32 s11, v1
	s_and_b64 s[10:11], s[10:11], s[6:7]
	s_mul_i32 s11, s11, 24
	s_mul_hi_u32 s15, s10, 24
	s_mul_i32 s10, s10, 24
	s_add_i32 s15, s15, s11
	v_add_co_u32 v4, vcc_lo, v6, s10
	v_add_co_ci_u32_e32 v5, vcc_lo, s15, v7, vcc_lo
	s_mov_b32 s10, exec_lo
	global_store_dwordx2 v[4:5], v[14:15], off
	s_waitcnt_vscnt null, 0x0
	global_atomic_cmpswap_x2 v[2:3], v8, v[12:15], s[26:27] offset:32 glc
	s_waitcnt vmcnt(0)
	v_cmpx_ne_u64_e64 v[2:3], v[14:15]
	s_cbranch_execz .LBB4_1687
; %bb.1685:
	s_mov_b32 s11, 0
.LBB4_1686:                             ; =>This Inner Loop Header: Depth=1
	v_mov_b32_e32 v0, s6
	v_mov_b32_e32 v1, s7
	s_sleep 1
	global_store_dwordx2 v[4:5], v[2:3], off
	s_waitcnt_vscnt null, 0x0
	global_atomic_cmpswap_x2 v[0:1], v8, v[0:3], s[26:27] offset:32 glc
	s_waitcnt vmcnt(0)
	v_cmp_eq_u64_e32 vcc_lo, v[0:1], v[2:3]
	v_mov_b32_e32 v3, v1
	v_mov_b32_e32 v2, v0
	s_or_b32 s11, vcc_lo, s11
	s_andn2_b32 exec_lo, exec_lo, s11
	s_cbranch_execnz .LBB4_1686
.LBB4_1687:
	s_or_b32 exec_lo, exec_lo, s10
	v_mov_b32_e32 v3, 0
	s_mov_b32 s11, exec_lo
	s_mov_b32 s10, exec_lo
	v_mbcnt_lo_u32_b32 v2, s11, 0
	global_load_dwordx2 v[0:1], v3, s[26:27] offset:16
	v_cmpx_eq_u32_e32 0, v2
	s_cbranch_execz .LBB4_1689
; %bb.1688:
	s_bcnt1_i32_b32 s11, s11
	v_mov_b32_e32 v2, s11
	s_waitcnt vmcnt(0)
	global_atomic_add_x2 v[0:1], v[2:3], off offset:8
.LBB4_1689:
	s_or_b32 exec_lo, exec_lo, s10
	s_waitcnt vmcnt(0)
	global_load_dwordx2 v[2:3], v[0:1], off offset:16
	s_waitcnt vmcnt(0)
	v_cmp_eq_u64_e32 vcc_lo, 0, v[2:3]
	s_cbranch_vccnz .LBB4_1691
; %bb.1690:
	global_load_dword v0, v[0:1], off offset:24
	v_mov_b32_e32 v1, 0
	s_waitcnt vmcnt(0)
	v_and_b32_e32 v4, 0x7fffff, v0
	s_waitcnt_vscnt null, 0x0
	global_store_dwordx2 v[2:3], v[0:1], off
	v_readfirstlane_b32 m0, v4
	s_sendmsg sendmsg(MSG_INTERRUPT)
.LBB4_1691:
	s_or_b32 exec_lo, exec_lo, s5
	s_branch .LBB4_1695
	.p2align	6
.LBB4_1692:                             ;   in Loop: Header=BB4_1695 Depth=1
	s_or_b32 exec_lo, exec_lo, s5
	v_readfirstlane_b32 s5, v0
	s_cmp_eq_u32 s5, 0
	s_cbranch_scc1 .LBB4_1694
; %bb.1693:                             ;   in Loop: Header=BB4_1695 Depth=1
	s_sleep 1
	s_cbranch_execnz .LBB4_1695
	s_branch .LBB4_1697
	.p2align	6
.LBB4_1694:
	s_branch .LBB4_1697
.LBB4_1695:                             ; =>This Inner Loop Header: Depth=1
	v_mov_b32_e32 v0, 1
	s_and_saveexec_b32 s5, s4
	s_cbranch_execz .LBB4_1692
; %bb.1696:                             ;   in Loop: Header=BB4_1695 Depth=1
	global_load_dword v0, v[10:11], off offset:20 glc dlc
	s_waitcnt vmcnt(0)
	buffer_gl1_inv
	buffer_gl0_inv
	v_and_b32_e32 v0, 1, v0
	s_branch .LBB4_1692
.LBB4_1697:
	s_and_saveexec_b32 s5, s4
	s_cbranch_execz .LBB4_1701
; %bb.1698:
	v_mov_b32_e32 v6, 0
	s_clause 0x2
	global_load_dwordx2 v[2:3], v6, s[26:27] offset:40
	global_load_dwordx2 v[7:8], v6, s[26:27] offset:24 glc dlc
	global_load_dwordx2 v[4:5], v6, s[26:27]
	s_waitcnt vmcnt(2)
	v_add_co_u32 v9, vcc_lo, v2, 1
	v_add_co_ci_u32_e32 v10, vcc_lo, 0, v3, vcc_lo
	v_add_co_u32 v0, vcc_lo, v9, s6
	v_add_co_ci_u32_e32 v1, vcc_lo, s7, v10, vcc_lo
	v_cmp_eq_u64_e32 vcc_lo, 0, v[0:1]
	v_cndmask_b32_e32 v1, v1, v10, vcc_lo
	v_cndmask_b32_e32 v0, v0, v9, vcc_lo
	v_and_b32_e32 v3, v1, v3
	v_and_b32_e32 v2, v0, v2
	v_mul_lo_u32 v3, v3, 24
	v_mul_hi_u32 v9, v2, 24
	v_mul_lo_u32 v2, v2, 24
	v_add_nc_u32_e32 v3, v9, v3
	s_waitcnt vmcnt(0)
	v_add_co_u32 v4, vcc_lo, v4, v2
	v_mov_b32_e32 v2, v7
	v_add_co_ci_u32_e32 v5, vcc_lo, v5, v3, vcc_lo
	v_mov_b32_e32 v3, v8
	global_store_dwordx2 v[4:5], v[7:8], off
	s_waitcnt_vscnt null, 0x0
	global_atomic_cmpswap_x2 v[2:3], v6, v[0:3], s[26:27] offset:24 glc
	s_waitcnt vmcnt(0)
	v_cmp_ne_u64_e32 vcc_lo, v[2:3], v[7:8]
	s_and_b32 exec_lo, exec_lo, vcc_lo
	s_cbranch_execz .LBB4_1701
; %bb.1699:
	s_mov_b32 s4, 0
.LBB4_1700:                             ; =>This Inner Loop Header: Depth=1
	s_sleep 1
	global_store_dwordx2 v[4:5], v[2:3], off
	s_waitcnt_vscnt null, 0x0
	global_atomic_cmpswap_x2 v[7:8], v6, v[0:3], s[26:27] offset:24 glc
	s_waitcnt vmcnt(0)
	v_cmp_eq_u64_e32 vcc_lo, v[7:8], v[2:3]
	v_mov_b32_e32 v2, v7
	v_mov_b32_e32 v3, v8
	s_or_b32 s4, vcc_lo, s4
	s_andn2_b32 exec_lo, exec_lo, s4
	s_cbranch_execnz .LBB4_1700
.LBB4_1701:
	s_or_b32 exec_lo, exec_lo, s5
	flat_load_dwordx2 v[0:1], v[36:37]
	s_waitcnt vmcnt(0) lgkmcnt(0)
	flat_load_dword v2, v[0:1]
	s_waitcnt vmcnt(0) lgkmcnt(0)
	v_add_nc_u32_e32 v2, 1, v2
	flat_store_dword v[0:1], v2
.LBB4_1702:
	s_or_b32 exec_lo, exec_lo, s34
	s_getpc_b64 s[4:5]
	s_add_u32 s4, s4, _ZN8migraphx4test4failEv@rel32@lo+4
	s_addc_u32 s5, s5, _ZN8migraphx4test4failEv@rel32@hi+12
	s_swappc_b64 s[30:31], s[4:5]
	; divergent unreachable
.LBB4_1703:
	s_andn2_saveexec_b32 s4, s28
	s_or_b32 exec_lo, exec_lo, s4
	v_readlane_b32 s30, v40, 0
	v_readlane_b32 s31, v40, 1
	;; [unrolled: 1-line block ×3, first 2 shown]
	s_or_saveexec_b32 s5, -1
	buffer_load_dword v40, off, s[0:3], s33 offset:60 ; 4-byte Folded Reload
	s_mov_b32 exec_lo, s5
	s_addk_i32 s32, 0xf600
	s_mov_b32 s33, s4
	s_waitcnt vmcnt(0)
	s_setpc_b64 s[30:31]
.Lfunc_end4:
	.size	_ZL26search_stress_long_patternRN8migraphx4test12test_managerE, .Lfunc_end4-_ZL26search_stress_long_patternRN8migraphx4test12test_managerE
                                        ; -- End function
	.section	.AMDGPU.csdata,"",@progbits
; Function info:
; codeLenInByte = 61220
; NumSgprs: 46
; NumVgprs: 51
; ScratchSize: 80
; MemoryBound: 0
	.text
	.protected	gpu_test_kernel         ; -- Begin function gpu_test_kernel
	.globl	gpu_test_kernel
	.p2align	8
	.type	gpu_test_kernel,@function
gpu_test_kernel:                        ; @gpu_test_kernel
; %bb.0:
	s_add_u32 s8, s8, s13
	s_mov_b32 s32, 0
	s_addc_u32 s9, s9, 0
	s_setreg_b32 hwreg(HW_REG_FLAT_SCR_LO), s8
	s_setreg_b32 hwreg(HW_REG_FLAT_SCR_HI), s9
	s_load_dwordx2 s[4:5], s[4:5], 0x4
	s_load_dwordx2 s[8:9], s[6:7], 0x8
	s_add_u32 s0, s0, s13
	s_addc_u32 s1, s1, 0
	s_load_dword s48, s[6:7], 0x0
	s_mov_b32 s39, s12
	s_mov_b64 s[44:45], src_shared_base
	s_waitcnt lgkmcnt(0)
	s_lshr_b32 s4, s4, 16
	s_mul_i32 s4, s4, s5
	s_cmp_lt_i32 s48, 5
	v_mul_lo_u32 v3, s4, v0
	s_mov_b32 s4, -1
	v_mad_u32_u24 v1, v1, s5, v3
	v_add_lshl_u32 v41, v1, v2, 3
	v_mov_b32_e32 v1, s8
	v_mov_b32_e32 v2, s9
	ds_write_b64 v41, v[1:2]
	s_cbranch_scc1 .LBB5_4
; %bb.1:
	s_cmp_eq_u32 s48, 5
	s_cbranch_scc0 .LBB5_3
; %bb.2:
	v_mov_b32_e32 v1, s45
	v_mov_b32_e32 v31, v0
	;; [unrolled: 1-line block ×4, first 2 shown]
	s_add_u32 s8, s6, 16
	s_addc_u32 s9, s7, 0
	s_mov_b32 s12, s10
	s_mov_b32 s13, s11
	;; [unrolled: 1-line block ×3, first 2 shown]
	s_getpc_b64 s[4:5]
	s_add_u32 s4, s4, _ZL26search_stress_long_patternRN8migraphx4test12test_managerE@rel32@lo+4
	s_addc_u32 s5, s5, _ZL26search_stress_long_patternRN8migraphx4test12test_managerE@rel32@hi+12
	s_mov_b64 s[46:47], s[6:7]
	s_mov_b32 s49, s11
	s_mov_b32 s44, s10
	s_swappc_b64 s[30:31], s[4:5]
	v_mov_b32_e32 v0, v42
	s_mov_b32 s10, s44
	s_mov_b32 s11, s49
	s_mov_b64 s[6:7], s[46:47]
.LBB5_3:
	s_mov_b32 s4, 0
.LBB5_4:
	s_andn2_b32 vcc_lo, exec_lo, s4
	s_cbranch_vccnz .LBB5_7
; %bb.5:
	s_cmp_lg_u32 s48, 3
	s_cbranch_scc1 .LBB5_7
; %bb.6:
	v_mov_b32_e32 v1, s45
	v_mov_b32_e32 v31, v0
	;; [unrolled: 1-line block ×3, first 2 shown]
	s_add_u32 s8, s6, 16
	s_addc_u32 s9, s7, 0
	s_mov_b32 s12, s10
	s_mov_b32 s13, s11
	s_mov_b32 s14, s39
	s_getpc_b64 s[4:5]
	s_add_u32 s4, s4, _ZL37search_pattern_appears_multiple_timesRN8migraphx4test12test_managerE@rel32@lo+4
	s_addc_u32 s5, s5, _ZL37search_pattern_appears_multiple_timesRN8migraphx4test12test_managerE@rel32@hi+12
	s_swappc_b64 s[30:31], s[4:5]
.LBB5_7:
	s_endpgm
	.section	.rodata,"a",@progbits
	.p2align	6, 0x0
	.amdhsa_kernel gpu_test_kernel
		.amdhsa_group_segment_fixed_size 8192
		.amdhsa_private_segment_fixed_size 80
		.amdhsa_kernarg_size 272
		.amdhsa_user_sgpr_count 10
		.amdhsa_user_sgpr_private_segment_buffer 1
		.amdhsa_user_sgpr_dispatch_ptr 1
		.amdhsa_user_sgpr_queue_ptr 0
		.amdhsa_user_sgpr_kernarg_segment_ptr 1
		.amdhsa_user_sgpr_dispatch_id 0
		.amdhsa_user_sgpr_flat_scratch_init 1
		.amdhsa_user_sgpr_private_segment_size 0
		.amdhsa_wavefront_size32 1
		.amdhsa_uses_dynamic_stack 0
		.amdhsa_system_sgpr_private_segment_wavefront_offset 1
		.amdhsa_system_sgpr_workgroup_id_x 1
		.amdhsa_system_sgpr_workgroup_id_y 1
		.amdhsa_system_sgpr_workgroup_id_z 1
		.amdhsa_system_sgpr_workgroup_info 0
		.amdhsa_system_vgpr_workitem_id 2
		.amdhsa_next_free_vgpr 51
		.amdhsa_next_free_sgpr 50
		.amdhsa_reserve_vcc 1
		.amdhsa_reserve_flat_scratch 1
		.amdhsa_float_round_mode_32 0
		.amdhsa_float_round_mode_16_64 0
		.amdhsa_float_denorm_mode_32 3
		.amdhsa_float_denorm_mode_16_64 3
		.amdhsa_dx10_clamp 1
		.amdhsa_ieee_mode 1
		.amdhsa_fp16_overflow 0
		.amdhsa_workgroup_processor_mode 1
		.amdhsa_memory_ordered 1
		.amdhsa_forward_progress 0
		.amdhsa_shared_vgpr_count 0
		.amdhsa_exception_fp_ieee_invalid_op 0
		.amdhsa_exception_fp_denorm_src 0
		.amdhsa_exception_fp_ieee_div_zero 0
		.amdhsa_exception_fp_ieee_overflow 0
		.amdhsa_exception_fp_ieee_underflow 0
		.amdhsa_exception_fp_ieee_inexact 0
		.amdhsa_exception_int_div_zero 0
	.end_amdhsa_kernel
	.text
.Lfunc_end5:
	.size	gpu_test_kernel, .Lfunc_end5-gpu_test_kernel
                                        ; -- End function
	.section	.AMDGPU.csdata,"",@progbits
; Kernel info:
; codeLenInByte = 300
; NumSgprs: 52
; NumVgprs: 51
; ScratchSize: 80
; MemoryBound: 0
; FloatMode: 240
; IeeeMode: 1
; LDSByteSize: 8192 bytes/workgroup (compile time only)
; SGPRBlocks: 6
; VGPRBlocks: 6
; NumSGPRsForWavesPerEU: 52
; NumVGPRsForWavesPerEU: 51
; Occupancy: 16
; WaveLimiterHint : 1
; COMPUTE_PGM_RSRC2:SCRATCH_EN: 1
; COMPUTE_PGM_RSRC2:USER_SGPR: 10
; COMPUTE_PGM_RSRC2:TRAP_HANDLER: 0
; COMPUTE_PGM_RSRC2:TGID_X_EN: 1
; COMPUTE_PGM_RSRC2:TGID_Y_EN: 1
; COMPUTE_PGM_RSRC2:TGID_Z_EN: 1
; COMPUTE_PGM_RSRC2:TIDIG_COMP_CNT: 2
	.text
	.p2alignl 6, 3214868480
	.fill 48, 4, 3214868480
	.type	.str.1,@object                  ; @.str.1
	.section	.rodata.str1.1,"aMS",@progbits,1
.str.1:
	.asciz	"/root/src/amdgpu-assembly/repos/ROCm__AMDMIGraphX/_shim/test_algorithm_12_shim.cpp"
	.size	.str.1, 83

	.type	.str.2,@object                  ; @.str.2
.str.2:
	.asciz	"    FAILED: "
	.size	.str.2, 13

	.type	.str.3,@object                  ; @.str.3
.str.3:
	.asciz	" [ "
	.size	.str.3, 4

	.type	.str.4,@object                  ; @.str.4
.str.4:
	.asciz	" ]"
	.size	.str.4, 3

	.type	.str.5,@object                  ; @.str.5
.str.5:
	.asciz	"%s"
	.size	.str.5, 3

	.type	.str.6,@object                  ; @.str.6
.str.6:
	.asciz	"%c"
	.size	.str.6, 3

	.type	.str.7,@object                  ; @.str.7
.str.7:
	.asciz	"%li"
	.size	.str.7, 4

	.type	.str.8,@object                  ; @.str.8
.str.8:
	.asciz	" "
	.size	.str.8, 2

	.type	.str.10,@object                 ; @.str.10
.str.10:
	.asciz	"=="
	.size	.str.10, 3

	.type	.str.11,@object                 ; @.str.11
.str.11:
	.asciz	"true"
	.size	.str.11, 5

	.type	.str.12,@object                 ; @.str.12
.str.12:
	.asciz	"false"
	.size	.str.12, 6

	.type	.str.14,@object                 ; @.str.14
.str.14:
	.asciz	"result == haystack.begin() + 1"
	.size	.str.14, 31

	.type	__PRETTY_FUNCTION__._ZL37search_pattern_appears_multiple_timesRN8migraphx4test12test_managerE,@object ; @__PRETTY_FUNCTION__._ZL37search_pattern_appears_multiple_timesRN8migraphx4test12test_managerE
__PRETTY_FUNCTION__._ZL37search_pattern_appears_multiple_timesRN8migraphx4test12test_managerE:
	.asciz	"void search_pattern_appears_multiple_times(migraphx::test::test_manager &)"
	.size	__PRETTY_FUNCTION__._ZL37search_pattern_appears_multiple_timesRN8migraphx4test12test_managerE, 75

	.type	.str.16,@object                 ; @.str.16
.str.16:
	.asciz	"result == haystack.begin() + 5"
	.size	.str.16, 31

	.type	__PRETTY_FUNCTION__._ZL26search_stress_long_patternRN8migraphx4test12test_managerE,@object ; @__PRETTY_FUNCTION__._ZL26search_stress_long_patternRN8migraphx4test12test_managerE
__PRETTY_FUNCTION__._ZL26search_stress_long_patternRN8migraphx4test12test_managerE:
	.asciz	"void search_stress_long_pattern(migraphx::test::test_manager &)"
	.size	__PRETTY_FUNCTION__._ZL26search_stress_long_patternRN8migraphx4test12test_managerE, 64

	.type	__hip_cuid_78c7d85a4d59a44e,@object ; @__hip_cuid_78c7d85a4d59a44e
	.section	.bss,"aw",@nobits
	.globl	__hip_cuid_78c7d85a4d59a44e
__hip_cuid_78c7d85a4d59a44e:
	.byte	0                               ; 0x0
	.size	__hip_cuid_78c7d85a4d59a44e, 1

	.ident	"AMD clang version 19.0.0git (https://github.com/RadeonOpenCompute/llvm-project roc-6.4.0 25133 c7fe45cf4b819c5991fe208aaa96edf142730f1d)"
	.section	".note.GNU-stack","",@progbits
	.addrsig
	.addrsig_sym __hip_cuid_78c7d85a4d59a44e
	.amdgpu_metadata
---
amdhsa.kernels:
  - .args:
      - .offset:         0
        .size:           4
        .value_kind:     by_value
      - .address_space:  global
        .offset:         8
        .size:           8
        .value_kind:     global_buffer
      - .offset:         16
        .size:           4
        .value_kind:     hidden_block_count_x
      - .offset:         20
        .size:           4
        .value_kind:     hidden_block_count_y
      - .offset:         24
        .size:           4
        .value_kind:     hidden_block_count_z
      - .offset:         28
        .size:           2
        .value_kind:     hidden_group_size_x
      - .offset:         30
        .size:           2
        .value_kind:     hidden_group_size_y
      - .offset:         32
        .size:           2
        .value_kind:     hidden_group_size_z
      - .offset:         34
        .size:           2
        .value_kind:     hidden_remainder_x
      - .offset:         36
        .size:           2
        .value_kind:     hidden_remainder_y
      - .offset:         38
        .size:           2
        .value_kind:     hidden_remainder_z
      - .offset:         56
        .size:           8
        .value_kind:     hidden_global_offset_x
      - .offset:         64
        .size:           8
        .value_kind:     hidden_global_offset_y
      - .offset:         72
        .size:           8
        .value_kind:     hidden_global_offset_z
      - .offset:         80
        .size:           2
        .value_kind:     hidden_grid_dims
      - .offset:         96
        .size:           8
        .value_kind:     hidden_hostcall_buffer
    .group_segment_fixed_size: 8192
    .kernarg_segment_align: 8
    .kernarg_segment_size: 272
    .language:       OpenCL C
    .language_version:
      - 2
      - 0
    .max_flat_workgroup_size: 1024
    .name:           gpu_test_kernel
    .private_segment_fixed_size: 80
    .sgpr_count:     52
    .sgpr_spill_count: 0
    .symbol:         gpu_test_kernel.kd
    .uniform_work_group_size: 1
    .uses_dynamic_stack: false
    .vgpr_count:     51
    .vgpr_spill_count: 0
    .wavefront_size: 32
    .workgroup_processor_mode: 1
amdhsa.target:   amdgcn-amd-amdhsa--gfx1030
amdhsa.version:
  - 1
  - 2
...

	.end_amdgpu_metadata
